;; amdgpu-corpus repo=ROCm/rocFFT kind=compiled arch=gfx90a opt=O3
	.text
	.amdgcn_target "amdgcn-amd-amdhsa--gfx90a"
	.amdhsa_code_object_version 6
	.protected	bluestein_single_fwd_len2700_dim1_dp_op_CI_CI ; -- Begin function bluestein_single_fwd_len2700_dim1_dp_op_CI_CI
	.globl	bluestein_single_fwd_len2700_dim1_dp_op_CI_CI
	.p2align	8
	.type	bluestein_single_fwd_len2700_dim1_dp_op_CI_CI,@function
bluestein_single_fwd_len2700_dim1_dp_op_CI_CI: ; @bluestein_single_fwd_len2700_dim1_dp_op_CI_CI
; %bb.0:
	s_load_dwordx4 s[12:15], s[4:5], 0x28
	s_mov_b64 s[38:39], s[2:3]
	s_mov_b64 s[36:37], s[0:1]
	v_mul_u32_u24_e32 v1, 0x2d9, v0
	s_add_u32 s36, s36, s7
	v_add_u32_sdwa v2, s6, v1 dst_sel:DWORD dst_unused:UNUSED_PAD src0_sel:DWORD src1_sel:WORD_1
	v_mov_b32_e32 v3, 0
	s_addc_u32 s37, s37, 0
	s_waitcnt lgkmcnt(0)
	v_cmp_gt_u64_e32 vcc, s[12:13], v[2:3]
	s_and_saveexec_b64 s[0:1], vcc
	s_cbranch_execz .LBB0_2
; %bb.1:
	s_load_dwordx4 s[8:11], s[4:5], 0x0
	s_load_dwordx4 s[20:23], s[4:5], 0x18
	s_load_dwordx2 s[12:13], s[4:5], 0x38
	s_movk_i32 s16, 0x5a
	v_mul_lo_u16_sdwa v1, v1, s16 dst_sel:DWORD dst_unused:UNUSED_PAD src0_sel:WORD_1 src1_sel:DWORD
	v_sub_u16_e32 v171, v0, v1
	s_waitcnt lgkmcnt(0)
	s_load_dwordx4 s[0:3], s[22:23], 0x0
	v_lshlrev_b32_e32 v185, 4, v171
	s_movk_i32 s26, 0x3000
	v_mov_b32_e32 v231, 0x3840
	v_mov_b32_e32 v18, 0xffff9520
	s_waitcnt lgkmcnt(0)
	v_mad_u64_u32 v[4:5], s[4:5], s2, v2, 0
	v_mov_b32_e32 v0, v5
	v_mad_u64_u32 v[0:1], s[2:3], s3, v2, v[0:1]
	v_mov_b32_e32 v5, v0
	buffer_store_dword v4, off, s[36:39], 0 offset:552 ; 4-byte Folded Spill
	s_nop 0
	buffer_store_dword v5, off, s[36:39], 0 offset:556 ; 4-byte Folded Spill
	global_load_dwordx4 v[10:13], v185, s[8:9]
	s_load_dwordx4 s[4:7], s[20:21], 0x0
	s_movk_i32 s27, 0x1000
	s_movk_i32 s28, 0x2000
	v_add_u32_e32 v132, 0x168, v171
	v_add_u32_e32 v195, 0x1c2, v171
	s_waitcnt lgkmcnt(0)
	v_mad_u64_u32 v[0:1], s[2:3], s6, v2, 0
	v_mov_b32_e32 v4, v1
	s_movk_i32 s29, 0x90
                                        ; kill: killed $sgpr8_sgpr9
	v_accvgpr_write_b32 a91, v132
	v_mov_b32_e32 v176, s11
	s_mov_b32 s19, 0xbfee6f0e
	s_mov_b32 s17, 0xbfe2cf23
	;; [unrolled: 1-line block ×7, first 2 shown]
	v_mov_b32_e32 v230, v171
	v_accvgpr_write_b32 a90, v230
	v_mad_u64_u32 v[2:3], s[2:3], s7, v2, v[4:5]
	v_mov_b32_e32 v1, v2
	v_mad_u64_u32 v[2:3], s[2:3], s4, v171, 0
	v_mov_b32_e32 v4, v3
	v_mad_u64_u32 v[4:5], s[2:3], s5, v171, v[4:5]
	v_lshlrev_b64 v[0:1], 4, v[0:1]
	v_mov_b32_e32 v3, v4
	v_add_co_u32_e32 v4, vcc, s14, v0
	v_mov_b32_e32 v0, s15
	v_addc_co_u32_e32 v5, vcc, v0, v1, vcc
	v_lshlrev_b64 v[0:1], 4, v[2:3]
	v_add_co_u32_e32 v8, vcc, v4, v0
	v_addc_co_u32_e32 v9, vcc, v5, v1, vcc
	global_load_dwordx4 v[0:3], v[8:9], off
	s_waitcnt vmcnt(1)
	buffer_store_dword v10, off, s[36:39], 0 offset:32 ; 4-byte Folded Spill
	s_nop 0
	buffer_store_dword v11, off, s[36:39], 0 offset:36 ; 4-byte Folded Spill
	buffer_store_dword v12, off, s[36:39], 0 offset:40 ; 4-byte Folded Spill
	;; [unrolled: 1-line block ×3, first 2 shown]
	v_add_co_u32_e32 v178, vcc, s8, v185
	v_mov_b32_e32 v4, s9
	v_addc_co_u32_e32 v177, vcc, 0, v4, vcc
	s_mov_b32 s14, 0x372fe950
	s_mov_b32 s15, 0x3fd3c6ef
	;; [unrolled: 1-line block ×3, first 2 shown]
	s_waitcnt vmcnt(4)
	v_mul_f64 v[4:5], v[2:3], v[12:13]
	v_fmac_f64_e32 v[4:5], v[0:1], v[10:11]
	v_mul_f64 v[0:1], v[0:1], v[12:13]
	v_fma_f64 v[6:7], v[2:3], v[10:11], -v[0:1]
	ds_write_b128 v185, v[4:7]
	v_add_co_u32_e32 v4, vcc, s26, v178
	v_addc_co_u32_e32 v5, vcc, 0, v177, vcc
	global_load_dwordx4 v[12:15], v[4:5], off offset:2112
	v_mad_u64_u32 v[10:11], s[2:3], s4, v231, v[8:9]
	s_mul_i32 s2, s5, 0x3840
	v_add_u32_e32 v11, s2, v11
	global_load_dwordx4 v[0:3], v[10:11], off
	s_movk_i32 s3, 0x7000
	s_waitcnt vmcnt(1)
	buffer_store_dword v12, off, s[36:39], 0 offset:48 ; 4-byte Folded Spill
	s_nop 0
	buffer_store_dword v13, off, s[36:39], 0 offset:52 ; 4-byte Folded Spill
	buffer_store_dword v14, off, s[36:39], 0 offset:56 ; 4-byte Folded Spill
	;; [unrolled: 1-line block ×3, first 2 shown]
	s_waitcnt vmcnt(4)
	v_mul_f64 v[6:7], v[2:3], v[14:15]
	v_fmac_f64_e32 v[6:7], v[0:1], v[12:13]
	v_mul_f64 v[0:1], v[0:1], v[14:15]
	v_fma_f64 v[8:9], v[2:3], v[12:13], -v[0:1]
	v_add_co_u32_e32 v0, vcc, s3, v178
	v_addc_co_u32_e32 v1, vcc, 0, v177, vcc
	global_load_dwordx4 v[12:15], v[0:1], off offset:128
	v_mad_u64_u32 v[2:3], s[6:7], s4, v231, v[10:11]
	v_add_u32_e32 v3, s2, v3
	ds_write_b128 v185, v[6:9] offset:14400
	global_load_dwordx4 v[6:9], v[2:3], off
	s_mul_i32 s3, s5, 0xffff9520
	s_sub_i32 s3, s3, s4
	s_movk_i32 s5, 0xb4
	v_add_co_u32_e32 v162, vcc, s16, v171
	v_add_co_u32_e32 v163, vcc, s5, v171
	s_movk_i32 s5, 0x4000
                                        ; kill: killed $vgpr0 killed $vgpr1
	s_waitcnt vmcnt(1)
	buffer_store_dword v12, off, s[36:39], 0 offset:64 ; 4-byte Folded Spill
	s_nop 0
	buffer_store_dword v13, off, s[36:39], 0 offset:68 ; 4-byte Folded Spill
	buffer_store_dword v14, off, s[36:39], 0 offset:72 ; 4-byte Folded Spill
	buffer_store_dword v15, off, s[36:39], 0 offset:76 ; 4-byte Folded Spill
	s_waitcnt vmcnt(4)
	v_mul_f64 v[10:11], v[8:9], v[14:15]
	v_fmac_f64_e32 v[10:11], v[6:7], v[12:13]
	v_mul_f64 v[6:7], v[6:7], v[14:15]
	v_fma_f64 v[12:13], v[8:9], v[12:13], -v[6:7]
	v_mov_b32_e32 v6, 0xffff9520
	v_mad_u64_u32 v[2:3], s[6:7], s4, v6, v[2:3]
	ds_write_b128 v185, v[10:13] offset:28800
	v_add_u32_e32 v3, s3, v3
	global_load_dwordx4 v[6:9], v[2:3], off
	global_load_dwordx4 v[12:15], v185, s[8:9] offset:1440
	v_mad_u64_u32 v[2:3], s[6:7], s4, v231, v[2:3]
	v_add_u32_e32 v3, s2, v3
	s_waitcnt vmcnt(0)
	buffer_store_dword v12, off, s[36:39], 0 offset:80 ; 4-byte Folded Spill
	s_nop 0
	buffer_store_dword v13, off, s[36:39], 0 offset:84 ; 4-byte Folded Spill
	buffer_store_dword v14, off, s[36:39], 0 offset:88 ; 4-byte Folded Spill
	;; [unrolled: 1-line block ×3, first 2 shown]
	v_mul_f64 v[10:11], v[8:9], v[14:15]
	v_fmac_f64_e32 v[10:11], v[6:7], v[12:13]
	v_mul_f64 v[6:7], v[6:7], v[14:15]
	v_fma_f64 v[12:13], v[8:9], v[12:13], -v[6:7]
	ds_write_b128 v185, v[10:13] offset:1440
	global_load_dwordx4 v[6:9], v[2:3], off
	global_load_dwordx4 v[12:15], v[4:5], off offset:3552
	v_mad_u64_u32 v[2:3], s[6:7], s4, v231, v[2:3]
	v_add_u32_e32 v3, s2, v3
	s_waitcnt vmcnt(0)
	buffer_store_dword v12, off, s[36:39], 0 offset:96 ; 4-byte Folded Spill
	s_nop 0
	buffer_store_dword v13, off, s[36:39], 0 offset:100 ; 4-byte Folded Spill
	buffer_store_dword v14, off, s[36:39], 0 offset:104 ; 4-byte Folded Spill
	;; [unrolled: 1-line block ×3, first 2 shown]
	v_mul_f64 v[10:11], v[8:9], v[14:15]
	v_fmac_f64_e32 v[10:11], v[6:7], v[12:13]
	v_mul_f64 v[6:7], v[6:7], v[14:15]
	v_fma_f64 v[12:13], v[8:9], v[12:13], -v[6:7]
	ds_write_b128 v185, v[10:13] offset:15840
	global_load_dwordx4 v[6:9], v[2:3], off
	global_load_dwordx4 v[12:15], v[0:1], off offset:1568
	v_mad_u64_u32 v[2:3], s[6:7], s4, v18, v[2:3]
	v_add_u32_e32 v3, s3, v3
	s_waitcnt vmcnt(0)
	buffer_store_dword v12, off, s[36:39], 0 offset:112 ; 4-byte Folded Spill
	s_nop 0
	buffer_store_dword v13, off, s[36:39], 0 offset:116 ; 4-byte Folded Spill
	buffer_store_dword v14, off, s[36:39], 0 offset:120 ; 4-byte Folded Spill
	;; [unrolled: 1-line block ×3, first 2 shown]
	v_mul_f64 v[10:11], v[8:9], v[14:15]
	v_fmac_f64_e32 v[10:11], v[6:7], v[12:13]
	v_mul_f64 v[6:7], v[6:7], v[14:15]
	v_fma_f64 v[12:13], v[8:9], v[12:13], -v[6:7]
	ds_write_b128 v185, v[10:13] offset:30240
	global_load_dwordx4 v[6:9], v[2:3], off
	global_load_dwordx4 v[12:15], v185, s[8:9] offset:2880
	s_waitcnt vmcnt(0)
	buffer_store_dword v12, off, s[36:39], 0 offset:128 ; 4-byte Folded Spill
	s_nop 0
	buffer_store_dword v13, off, s[36:39], 0 offset:132 ; 4-byte Folded Spill
	buffer_store_dword v14, off, s[36:39], 0 offset:136 ; 4-byte Folded Spill
	;; [unrolled: 1-line block ×3, first 2 shown]
	v_mul_f64 v[10:11], v[8:9], v[14:15]
	v_fmac_f64_e32 v[10:11], v[6:7], v[12:13]
	v_mul_f64 v[6:7], v[6:7], v[14:15]
	v_mad_u64_u32 v[14:15], s[6:7], s4, v231, v[2:3]
	v_add_co_u32_e32 v2, vcc, s5, v178
	v_addc_co_u32_e32 v3, vcc, 0, v177, vcc
	global_load_dwordx4 v[20:23], v[2:3], off offset:896
	v_add_u32_e32 v15, s2, v15
	v_fma_f64 v[12:13], v[8:9], v[12:13], -v[6:7]
	global_load_dwordx4 v[6:9], v[14:15], off
	ds_write_b128 v185, v[10:13] offset:2880
	v_mad_u64_u32 v[14:15], s[6:7], s4, v231, v[14:15]
	v_add_u32_e32 v15, s2, v15
	s_movk_i32 s5, 0x10e
	v_add_co_u32_e32 v194, vcc, s5, v171
	v_addc_co_u32_e64 v164, s[6:7], 0, 0, vcc
	s_mov_b32 s5, 0x8000
                                        ; kill: killed $vgpr2 killed $vgpr3
	s_waitcnt vmcnt(1)
	buffer_store_dword v20, off, s[36:39], 0 offset:160 ; 4-byte Folded Spill
	s_nop 0
	buffer_store_dword v21, off, s[36:39], 0 offset:164 ; 4-byte Folded Spill
	buffer_store_dword v22, off, s[36:39], 0 offset:168 ; 4-byte Folded Spill
	;; [unrolled: 1-line block ×3, first 2 shown]
	s_waitcnt vmcnt(4)
	v_mul_f64 v[10:11], v[8:9], v[22:23]
	v_fmac_f64_e32 v[10:11], v[6:7], v[20:21]
	v_mul_f64 v[6:7], v[6:7], v[22:23]
	v_fma_f64 v[12:13], v[8:9], v[20:21], -v[6:7]
	ds_write_b128 v185, v[10:13] offset:17280
	global_load_dwordx4 v[6:9], v[14:15], off
	global_load_dwordx4 v[20:23], v[0:1], off offset:3008
	v_mad_u64_u32 v[14:15], s[6:7], s4, v18, v[14:15]
	v_add_u32_e32 v15, s3, v15
	s_waitcnt vmcnt(0)
	buffer_store_dword v20, off, s[36:39], 0 offset:176 ; 4-byte Folded Spill
	s_nop 0
	buffer_store_dword v21, off, s[36:39], 0 offset:180 ; 4-byte Folded Spill
	buffer_store_dword v22, off, s[36:39], 0 offset:184 ; 4-byte Folded Spill
	;; [unrolled: 1-line block ×3, first 2 shown]
	v_mul_f64 v[0:1], v[6:7], v[22:23]
	v_fma_f64 v[12:13], v[8:9], v[20:21], -v[0:1]
	v_add_co_u32_e32 v0, vcc, s27, v178
	v_mul_f64 v[10:11], v[8:9], v[22:23]
	v_addc_co_u32_e32 v1, vcc, 0, v177, vcc
	v_fmac_f64_e32 v[10:11], v[6:7], v[20:21]
	global_load_dwordx4 v[20:23], v[0:1], off offset:224
	global_load_dwordx4 v[6:9], v[14:15], off
	ds_write_b128 v185, v[10:13] offset:31680
	v_mad_u64_u32 v[14:15], s[6:7], s4, v231, v[14:15]
	v_add_u32_e32 v15, s2, v15
	v_add_co_u32_e32 v16, vcc, s5, v178
	v_addc_co_u32_e32 v17, vcc, 0, v177, vcc
                                        ; kill: killed $vgpr0 killed $vgpr1
	s_movk_i32 s5, 0x5000
                                        ; kill: killed $vgpr16 killed $vgpr17
	s_waitcnt vmcnt(1)
	buffer_store_dword v20, off, s[36:39], 0 offset:192 ; 4-byte Folded Spill
	s_nop 0
	buffer_store_dword v21, off, s[36:39], 0 offset:196 ; 4-byte Folded Spill
	buffer_store_dword v22, off, s[36:39], 0 offset:200 ; 4-byte Folded Spill
	;; [unrolled: 1-line block ×3, first 2 shown]
	s_waitcnt vmcnt(4)
	v_mul_f64 v[10:11], v[8:9], v[22:23]
	v_fmac_f64_e32 v[10:11], v[6:7], v[20:21]
	v_mul_f64 v[6:7], v[6:7], v[22:23]
	v_fma_f64 v[12:13], v[8:9], v[20:21], -v[6:7]
	ds_write_b128 v185, v[10:13] offset:4320
	global_load_dwordx4 v[6:9], v[14:15], off
	global_load_dwordx4 v[20:23], v[2:3], off offset:2336
	v_mad_u64_u32 v[14:15], s[6:7], s4, v231, v[14:15]
	v_add_u32_e32 v15, s2, v15
	s_waitcnt vmcnt(0)
	buffer_store_dword v20, off, s[36:39], 0 offset:208 ; 4-byte Folded Spill
	s_nop 0
	buffer_store_dword v21, off, s[36:39], 0 offset:212 ; 4-byte Folded Spill
	buffer_store_dword v22, off, s[36:39], 0 offset:216 ; 4-byte Folded Spill
	buffer_store_dword v23, off, s[36:39], 0 offset:220 ; 4-byte Folded Spill
	v_mul_f64 v[10:11], v[8:9], v[22:23]
	v_fmac_f64_e32 v[10:11], v[6:7], v[20:21]
	v_mul_f64 v[6:7], v[6:7], v[22:23]
	v_fma_f64 v[12:13], v[8:9], v[20:21], -v[6:7]
	global_load_dwordx4 v[20:23], v[16:17], off offset:352
	global_load_dwordx4 v[6:9], v[14:15], off
	ds_write_b128 v185, v[10:13] offset:18720
	v_mad_u64_u32 v[14:15], s[6:7], s4, v18, v[14:15]
	v_add_u32_e32 v15, s3, v15
	s_waitcnt vmcnt(1)
	buffer_store_dword v20, off, s[36:39], 0 offset:224 ; 4-byte Folded Spill
	s_nop 0
	buffer_store_dword v21, off, s[36:39], 0 offset:228 ; 4-byte Folded Spill
	buffer_store_dword v22, off, s[36:39], 0 offset:232 ; 4-byte Folded Spill
	;; [unrolled: 1-line block ×3, first 2 shown]
	s_waitcnt vmcnt(4)
	v_mul_f64 v[10:11], v[8:9], v[22:23]
	v_fmac_f64_e32 v[10:11], v[6:7], v[20:21]
	v_mul_f64 v[6:7], v[6:7], v[22:23]
	v_fma_f64 v[12:13], v[8:9], v[20:21], -v[6:7]
	ds_write_b128 v185, v[10:13] offset:33120
	global_load_dwordx4 v[6:9], v[14:15], off
	global_load_dwordx4 v[20:23], v[0:1], off offset:1664
	v_mad_u64_u32 v[14:15], s[6:7], s4, v231, v[14:15]
	v_add_u32_e32 v15, s2, v15
	s_waitcnt vmcnt(0)
	buffer_store_dword v20, off, s[36:39], 0 offset:240 ; 4-byte Folded Spill
	s_nop 0
	buffer_store_dword v21, off, s[36:39], 0 offset:244 ; 4-byte Folded Spill
	buffer_store_dword v22, off, s[36:39], 0 offset:248 ; 4-byte Folded Spill
	;; [unrolled: 1-line block ×3, first 2 shown]
	v_mul_f64 v[10:11], v[8:9], v[22:23]
	v_fmac_f64_e32 v[10:11], v[6:7], v[20:21]
	v_mul_f64 v[6:7], v[6:7], v[22:23]
	v_fma_f64 v[12:13], v[8:9], v[20:21], -v[6:7]
	ds_write_b128 v185, v[10:13] offset:5760
	global_load_dwordx4 v[6:9], v[14:15], off
	global_load_dwordx4 v[20:23], v[2:3], off offset:3776
	s_waitcnt vmcnt(0)
	buffer_store_dword v20, off, s[36:39], 0 offset:320 ; 4-byte Folded Spill
	s_nop 0
	buffer_store_dword v21, off, s[36:39], 0 offset:324 ; 4-byte Folded Spill
	buffer_store_dword v22, off, s[36:39], 0 offset:328 ; 4-byte Folded Spill
	;; [unrolled: 1-line block ×3, first 2 shown]
	v_mul_f64 v[10:11], v[8:9], v[22:23]
	v_mul_f64 v[2:3], v[6:7], v[22:23]
	v_fmac_f64_e32 v[10:11], v[6:7], v[20:21]
	v_fma_f64 v[12:13], v[8:9], v[20:21], -v[2:3]
	v_mad_u64_u32 v[2:3], s[6:7], s4, v231, v[14:15]
	ds_write_b128 v185, v[10:13] offset:20160
	v_add_u32_e32 v3, s2, v3
	global_load_dwordx4 v[6:9], v[2:3], off
	global_load_dwordx4 v[12:15], v[16:17], off offset:1792
	s_waitcnt vmcnt(0)
	buffer_store_dword v12, off, s[36:39], 0 offset:256 ; 4-byte Folded Spill
	s_nop 0
	buffer_store_dword v13, off, s[36:39], 0 offset:260 ; 4-byte Folded Spill
	buffer_store_dword v14, off, s[36:39], 0 offset:264 ; 4-byte Folded Spill
	;; [unrolled: 1-line block ×3, first 2 shown]
	v_mul_f64 v[10:11], v[8:9], v[14:15]
	v_fmac_f64_e32 v[10:11], v[6:7], v[12:13]
	v_mul_f64 v[6:7], v[6:7], v[14:15]
	v_fma_f64 v[12:13], v[8:9], v[12:13], -v[6:7]
	ds_write_b128 v185, v[10:13] offset:34560
	v_mad_u64_u32 v[10:11], s[6:7], s4, v18, v[2:3]
	v_add_u32_e32 v11, s3, v11
	global_load_dwordx4 v[6:9], v[10:11], off
	global_load_dwordx4 v[12:15], v[0:1], off offset:3104
	v_mad_u64_u32 v[10:11], s[6:7], s4, v231, v[10:11]
	v_add_u32_e32 v11, s2, v11
	s_waitcnt vmcnt(0)
	buffer_store_dword v12, off, s[36:39], 0 offset:272 ; 4-byte Folded Spill
	s_nop 0
	buffer_store_dword v13, off, s[36:39], 0 offset:276 ; 4-byte Folded Spill
	buffer_store_dword v14, off, s[36:39], 0 offset:280 ; 4-byte Folded Spill
	;; [unrolled: 1-line block ×3, first 2 shown]
	v_mul_f64 v[0:1], v[8:9], v[14:15]
	v_mul_f64 v[2:3], v[6:7], v[14:15]
	v_fmac_f64_e32 v[0:1], v[6:7], v[12:13]
	v_fma_f64 v[2:3], v[8:9], v[12:13], -v[2:3]
	v_add_co_u32_e32 v12, vcc, s5, v178
	v_addc_co_u32_e32 v13, vcc, 0, v177, vcc
	global_load_dwordx4 v[20:23], v[12:13], off offset:1120
	ds_write_b128 v185, v[0:3] offset:7200
	global_load_dwordx4 v[0:3], v[10:11], off
	v_mad_u64_u32 v[10:11], s[6:7], s4, v231, v[10:11]
	v_add_u32_e32 v11, s2, v11
	s_movk_i32 s5, 0x21c
	v_add_co_u32_e32 v189, vcc, s5, v171
	v_add_co_u32_e32 v14, vcc, s28, v178
	v_addc_co_u32_e32 v15, vcc, 0, v177, vcc
	s_mov_b32 s5, 0x9000
                                        ; kill: killed $vgpr12 killed $vgpr13
	s_waitcnt vmcnt(1)
	buffer_store_dword v20, off, s[36:39], 0 offset:304 ; 4-byte Folded Spill
	s_nop 0
	buffer_store_dword v21, off, s[36:39], 0 offset:308 ; 4-byte Folded Spill
	buffer_store_dword v22, off, s[36:39], 0 offset:312 ; 4-byte Folded Spill
	;; [unrolled: 1-line block ×3, first 2 shown]
	s_waitcnt vmcnt(4)
	v_mul_f64 v[6:7], v[2:3], v[22:23]
	v_fmac_f64_e32 v[6:7], v[0:1], v[20:21]
	v_mul_f64 v[0:1], v[0:1], v[22:23]
	v_fma_f64 v[8:9], v[2:3], v[20:21], -v[0:1]
	ds_write_b128 v185, v[6:9] offset:21600
	global_load_dwordx4 v[0:3], v[10:11], off
	global_load_dwordx4 v[20:23], v[16:17], off offset:3232
	v_mad_u64_u32 v[10:11], s[6:7], s4, v18, v[10:11]
	v_add_u32_e32 v11, s3, v11
	v_add_co_u32_e32 v16, vcc, s5, v178
	v_addc_co_u32_e32 v17, vcc, 0, v177, vcc
	s_movk_i32 s5, 0x276
	v_add_co_u32_e32 v181, vcc, s5, v171
	s_movk_i32 s5, 0x2d0
	v_add_co_u32_e32 v180, vcc, s5, v171
	s_movk_i32 s5, 0x6000
	s_waitcnt vmcnt(0)
	buffer_store_dword v20, off, s[36:39], 0 offset:288 ; 4-byte Folded Spill
	s_nop 0
	buffer_store_dword v21, off, s[36:39], 0 offset:292 ; 4-byte Folded Spill
	buffer_store_dword v22, off, s[36:39], 0 offset:296 ; 4-byte Folded Spill
	;; [unrolled: 1-line block ×3, first 2 shown]
	v_mul_f64 v[6:7], v[2:3], v[22:23]
	v_fmac_f64_e32 v[6:7], v[0:1], v[20:21]
	v_mul_f64 v[0:1], v[0:1], v[22:23]
	v_fma_f64 v[8:9], v[2:3], v[20:21], -v[0:1]
	global_load_dwordx4 v[20:23], v[14:15], off offset:448
	global_load_dwordx4 v[0:3], v[10:11], off
	ds_write_b128 v185, v[6:9] offset:36000
	v_mad_u64_u32 v[10:11], s[6:7], s4, v231, v[10:11]
	v_add_u32_e32 v11, s2, v11
	s_waitcnt vmcnt(1)
	buffer_store_dword v20, off, s[36:39], 0 offset:432 ; 4-byte Folded Spill
	s_nop 0
	buffer_store_dword v21, off, s[36:39], 0 offset:436 ; 4-byte Folded Spill
	buffer_store_dword v22, off, s[36:39], 0 offset:440 ; 4-byte Folded Spill
	;; [unrolled: 1-line block ×3, first 2 shown]
	s_waitcnt vmcnt(4)
	v_mul_f64 v[6:7], v[2:3], v[22:23]
	v_fmac_f64_e32 v[6:7], v[0:1], v[20:21]
	v_mul_f64 v[0:1], v[0:1], v[22:23]
	v_fma_f64 v[8:9], v[2:3], v[20:21], -v[0:1]
	ds_write_b128 v185, v[6:9] offset:8640
	global_load_dwordx4 v[0:3], v[10:11], off
	global_load_dwordx4 v[20:23], v[12:13], off offset:2560
	v_mad_u64_u32 v[10:11], s[6:7], s4, v231, v[10:11]
	v_add_u32_e32 v11, s2, v11
	s_waitcnt vmcnt(0)
	buffer_store_dword v20, off, s[36:39], 0 offset:336 ; 4-byte Folded Spill
	s_nop 0
	buffer_store_dword v21, off, s[36:39], 0 offset:340 ; 4-byte Folded Spill
	buffer_store_dword v22, off, s[36:39], 0 offset:344 ; 4-byte Folded Spill
	buffer_store_dword v23, off, s[36:39], 0 offset:348 ; 4-byte Folded Spill
	v_mul_f64 v[6:7], v[2:3], v[22:23]
	v_fmac_f64_e32 v[6:7], v[0:1], v[20:21]
	v_mul_f64 v[0:1], v[0:1], v[22:23]
	v_fma_f64 v[8:9], v[2:3], v[20:21], -v[0:1]
	global_load_dwordx4 v[20:23], v[16:17], off offset:576
	global_load_dwordx4 v[0:3], v[10:11], off
	ds_write_b128 v185, v[6:9] offset:23040
	v_mad_u64_u32 v[10:11], s[6:7], s4, v18, v[10:11]
	v_add_u32_e32 v11, s3, v11
	s_waitcnt vmcnt(1)
	buffer_store_dword v20, off, s[36:39], 0 offset:368 ; 4-byte Folded Spill
	s_nop 0
	buffer_store_dword v21, off, s[36:39], 0 offset:372 ; 4-byte Folded Spill
	buffer_store_dword v22, off, s[36:39], 0 offset:376 ; 4-byte Folded Spill
	;; [unrolled: 1-line block ×3, first 2 shown]
	s_waitcnt vmcnt(4)
	v_mul_f64 v[6:7], v[2:3], v[22:23]
	v_fmac_f64_e32 v[6:7], v[0:1], v[20:21]
	v_mul_f64 v[0:1], v[0:1], v[22:23]
	v_fma_f64 v[8:9], v[2:3], v[20:21], -v[0:1]
	ds_write_b128 v185, v[6:9] offset:37440
	global_load_dwordx4 v[0:3], v[10:11], off
	global_load_dwordx4 v[20:23], v[14:15], off offset:1888
	v_mad_u64_u32 v[10:11], s[6:7], s4, v231, v[10:11]
	v_add_u32_e32 v11, s2, v11
	s_waitcnt vmcnt(0)
	buffer_store_dword v20, off, s[36:39], 0 offset:448 ; 4-byte Folded Spill
	s_nop 0
	buffer_store_dword v21, off, s[36:39], 0 offset:452 ; 4-byte Folded Spill
	buffer_store_dword v22, off, s[36:39], 0 offset:456 ; 4-byte Folded Spill
	buffer_store_dword v23, off, s[36:39], 0 offset:460 ; 4-byte Folded Spill
	v_mul_f64 v[6:7], v[2:3], v[22:23]
	v_fmac_f64_e32 v[6:7], v[0:1], v[20:21]
	v_mul_f64 v[0:1], v[0:1], v[22:23]
	v_fma_f64 v[8:9], v[2:3], v[20:21], -v[0:1]
	ds_write_b128 v185, v[6:9] offset:10080
	global_load_dwordx4 v[0:3], v[10:11], off
	global_load_dwordx4 v[20:23], v[12:13], off offset:4000
	v_mad_u64_u32 v[10:11], s[6:7], s4, v231, v[10:11]
	v_add_u32_e32 v11, s2, v11
	s_waitcnt vmcnt(0)
	buffer_store_dword v20, off, s[36:39], 0 offset:416 ; 4-byte Folded Spill
	s_nop 0
	buffer_store_dword v21, off, s[36:39], 0 offset:420 ; 4-byte Folded Spill
	buffer_store_dword v22, off, s[36:39], 0 offset:424 ; 4-byte Folded Spill
	buffer_store_dword v23, off, s[36:39], 0 offset:428 ; 4-byte Folded Spill
	;; [unrolled: 15-line block ×3, first 2 shown]
	v_mul_f64 v[6:7], v[2:3], v[22:23]
	v_fmac_f64_e32 v[6:7], v[0:1], v[20:21]
	v_mul_f64 v[0:1], v[0:1], v[22:23]
	v_fma_f64 v[8:9], v[2:3], v[20:21], -v[0:1]
	ds_write_b128 v185, v[6:9] offset:38880
	global_load_dwordx4 v[0:3], v[10:11], off
	s_nop 0
	global_load_dwordx4 v[12:15], v[14:15], off offset:3328
	s_waitcnt vmcnt(0)
	buffer_store_dword v12, off, s[36:39], 0 offset:400 ; 4-byte Folded Spill
	s_nop 0
	buffer_store_dword v13, off, s[36:39], 0 offset:404 ; 4-byte Folded Spill
	buffer_store_dword v14, off, s[36:39], 0 offset:408 ; 4-byte Folded Spill
	;; [unrolled: 1-line block ×3, first 2 shown]
	v_mul_f64 v[6:7], v[2:3], v[14:15]
	v_fmac_f64_e32 v[6:7], v[0:1], v[12:13]
	v_mul_f64 v[0:1], v[0:1], v[14:15]
	v_fma_f64 v[8:9], v[2:3], v[12:13], -v[0:1]
	ds_write_b128 v185, v[6:9] offset:11520
	v_add_co_u32_e32 v6, vcc, s5, v178
	v_addc_co_u32_e32 v7, vcc, 0, v177, vcc
	global_load_dwordx4 v[20:23], v[6:7], off offset:1344
	v_mad_u64_u32 v[12:13], s[6:7], s4, v231, v[10:11]
	v_add_u32_e32 v13, s2, v13
	global_load_dwordx4 v[0:3], v[12:13], off
	v_mad_u64_u32 v[12:13], s[6:7], s4, v231, v[12:13]
	s_waitcnt vmcnt(1)
	buffer_store_dword v20, off, s[36:39], 0 offset:464 ; 4-byte Folded Spill
	s_nop 0
	buffer_store_dword v21, off, s[36:39], 0 offset:468 ; 4-byte Folded Spill
	buffer_store_dword v22, off, s[36:39], 0 offset:472 ; 4-byte Folded Spill
	;; [unrolled: 1-line block ×3, first 2 shown]
	v_add_u32_e32 v13, s2, v13
	s_movk_i32 s5, 0x32a
	v_add_co_u32_e32 v205, vcc, s5, v171
	v_mov_b32_e32 v179, v205
	s_waitcnt vmcnt(4)
	v_mul_f64 v[8:9], v[2:3], v[22:23]
	v_fmac_f64_e32 v[8:9], v[0:1], v[20:21]
	v_mul_f64 v[0:1], v[0:1], v[22:23]
	v_fma_f64 v[10:11], v[2:3], v[20:21], -v[0:1]
	ds_write_b128 v185, v[8:11] offset:25920
	global_load_dwordx4 v[0:3], v[12:13], off
	s_nop 0
	global_load_dwordx4 v[14:17], v[16:17], off offset:3456
	s_waitcnt vmcnt(0)
	buffer_store_dword v14, off, s[36:39], 0 offset:384 ; 4-byte Folded Spill
	s_nop 0
	buffer_store_dword v15, off, s[36:39], 0 offset:388 ; 4-byte Folded Spill
	buffer_store_dword v16, off, s[36:39], 0 offset:392 ; 4-byte Folded Spill
	;; [unrolled: 1-line block ×3, first 2 shown]
	v_mul_f64 v[8:9], v[2:3], v[16:17]
	v_fmac_f64_e32 v[8:9], v[0:1], v[14:15]
	v_mul_f64 v[0:1], v[0:1], v[16:17]
	v_fma_f64 v[10:11], v[2:3], v[14:15], -v[0:1]
	ds_write_b128 v185, v[8:11] offset:40320
	v_mad_u64_u32 v[8:9], s[6:7], s4, v18, v[12:13]
	v_add_u32_e32 v9, s3, v9
	global_load_dwordx4 v[0:3], v[8:9], off
	global_load_dwordx4 v[12:15], v[4:5], off offset:672
	v_mad_u64_u32 v[8:9], s[6:7], s4, v231, v[8:9]
	s_waitcnt vmcnt(0)
	buffer_store_dword v12, off, s[36:39], 0 offset:480 ; 4-byte Folded Spill
	s_nop 0
	buffer_store_dword v13, off, s[36:39], 0 offset:484 ; 4-byte Folded Spill
	buffer_store_dword v14, off, s[36:39], 0 offset:488 ; 4-byte Folded Spill
	;; [unrolled: 1-line block ×3, first 2 shown]
	v_add_u32_e32 v9, s2, v9
	s_movk_i32 s6, 0xab
	v_mul_f64 v[10:11], v[2:3], v[14:15]
	v_fmac_f64_e32 v[10:11], v[0:1], v[12:13]
	v_mul_f64 v[0:1], v[0:1], v[14:15]
	v_fma_f64 v[12:13], v[2:3], v[12:13], -v[0:1]
	ds_write_b128 v185, v[10:13] offset:12960
	global_load_dwordx4 v[0:3], v[8:9], off
	global_load_dwordx4 v[10:13], v[6:7], off offset:2784
	s_waitcnt vmcnt(0)
	buffer_store_dword v10, off, s[36:39], 0 offset:496 ; 4-byte Folded Spill
	s_nop 0
	buffer_store_dword v11, off, s[36:39], 0 offset:500 ; 4-byte Folded Spill
	buffer_store_dword v12, off, s[36:39], 0 offset:504 ; 4-byte Folded Spill
	;; [unrolled: 1-line block ×3, first 2 shown]
	v_mul_f64 v[4:5], v[2:3], v[12:13]
	v_fmac_f64_e32 v[4:5], v[0:1], v[10:11]
	v_mul_f64 v[0:1], v[0:1], v[12:13]
	v_fma_f64 v[6:7], v[2:3], v[10:11], -v[0:1]
	v_mad_u64_u32 v[0:1], s[4:5], s4, v231, v[8:9]
	v_add_u32_e32 v1, s2, v1
	s_mov_b32 s2, 0xa000
	v_add_co_u32_e32 v8, vcc, s2, v178
	v_addc_co_u32_e32 v9, vcc, 0, v177, vcc
	ds_write_b128 v185, v[4:7] offset:27360
	global_load_dwordx4 v[4:7], v[8:9], off offset:800
	v_accvgpr_write_b32 a81, v9
	global_load_dwordx4 v[0:3], v[0:1], off
	v_accvgpr_write_b32 a80, v8
	s_mov_b32 s2, 0xe8584caa
	s_mov_b32 s3, 0x3febb67a
	;; [unrolled: 1-line block ×4, first 2 shown]
	s_waitcnt vmcnt(1)
	v_pk_mov_b32 v[8:9], v[6:7], v[6:7] op_sel:[0,1]
	v_pk_mov_b32 v[6:7], v[4:5], v[4:5] op_sel:[0,1]
	s_waitcnt vmcnt(0)
	v_mul_f64 v[4:5], v[2:3], v[8:9]
	v_fmac_f64_e32 v[4:5], v[0:1], v[6:7]
	v_mul_f64 v[0:1], v[0:1], v[8:9]
	buffer_store_dword v6, off, s[36:39], 0 offset:144 ; 4-byte Folded Spill
	s_nop 0
	buffer_store_dword v7, off, s[36:39], 0 offset:148 ; 4-byte Folded Spill
	buffer_store_dword v8, off, s[36:39], 0 offset:152 ; 4-byte Folded Spill
	;; [unrolled: 1-line block ×3, first 2 shown]
	v_fma_f64 v[6:7], v[2:3], v[6:7], -v[0:1]
	ds_write_b128 v185, v[4:7] offset:41760
	s_waitcnt lgkmcnt(0)
	s_barrier
	ds_read_b128 v[36:39], v185
	ds_read_b128 v[40:43], v185 offset:14400
	ds_read_b128 v[44:47], v185 offset:28800
	;; [unrolled: 1-line block ×29, first 2 shown]
	s_waitcnt lgkmcnt(14)
	v_add_f64 v[68:69], v[36:37], v[40:41]
	v_add_f64 v[100:101], v[68:69], v[44:45]
	;; [unrolled: 1-line block ×3, first 2 shown]
	v_fmac_f64_e32 v[36:37], -0.5, v[68:69]
	v_add_f64 v[68:69], v[42:43], -v[46:47]
	v_fma_f64 v[96:97], s[2:3], v[68:69], v[36:37]
	v_fmac_f64_e32 v[36:37], s[4:5], v[68:69]
	v_add_f64 v[68:69], v[38:39], v[42:43]
	v_add_f64 v[42:43], v[42:43], v[46:47]
	v_fmac_f64_e32 v[38:39], -0.5, v[42:43]
	v_add_f64 v[40:41], v[40:41], -v[44:45]
	v_fma_f64 v[98:99], s[4:5], v[40:41], v[38:39]
	v_fmac_f64_e32 v[38:39], s[2:3], v[40:41]
	v_add_f64 v[40:41], v[0:1], v[48:49]
	v_add_f64 v[44:45], v[40:41], v[52:53]
	;; [unrolled: 1-line block ×3, first 2 shown]
	v_fmac_f64_e32 v[0:1], -0.5, v[40:41]
	v_add_f64 v[42:43], v[50:51], -v[54:55]
	v_fma_f64 v[40:41], s[2:3], v[42:43], v[0:1]
	v_fmac_f64_e32 v[0:1], s[4:5], v[42:43]
	v_add_f64 v[42:43], v[2:3], v[50:51]
	v_add_f64 v[102:103], v[68:69], v[46:47]
	;; [unrolled: 1-line block ×4, first 2 shown]
	v_fmac_f64_e32 v[2:3], -0.5, v[42:43]
	v_add_f64 v[48:49], v[48:49], -v[52:53]
	v_add_f64 v[50:51], v[64:65], v[128:129]
	v_fma_f64 v[42:43], s[4:5], v[48:49], v[2:3]
	v_fmac_f64_e32 v[2:3], s[2:3], v[48:49]
	v_add_f64 v[48:49], v[4:5], v[64:65]
	v_fmac_f64_e32 v[4:5], -0.5, v[50:51]
	v_add_f64 v[50:51], v[66:67], -v[130:131]
	v_add_f64 v[54:55], v[66:67], v[130:131]
	v_fma_f64 v[52:53], s[2:3], v[50:51], v[4:5]
	v_fmac_f64_e32 v[4:5], s[4:5], v[50:51]
	v_add_f64 v[50:51], v[6:7], v[66:67]
	;; [unrolled: 6-line block ×3, first 2 shown]
	v_fmac_f64_e32 v[8:9], -0.5, v[66:67]
	v_add_f64 v[66:67], v[72:73], -v[76:77]
	v_fma_f64 v[68:69], s[2:3], v[66:67], v[8:9]
	v_fmac_f64_e32 v[8:9], s[4:5], v[66:67]
	v_add_f64 v[66:67], v[10:11], v[72:73]
	v_add_f64 v[72:73], v[72:73], v[76:77]
	;; [unrolled: 1-line block ×3, first 2 shown]
	v_fmac_f64_e32 v[10:11], -0.5, v[72:73]
	v_add_f64 v[72:73], v[70:71], -v[74:75]
	v_add_f64 v[74:75], v[88:89], v[92:93]
	v_fma_f64 v[70:71], s[4:5], v[72:73], v[10:11]
	v_fmac_f64_e32 v[10:11], s[2:3], v[72:73]
	v_add_f64 v[72:73], v[16:17], v[88:89]
	v_fmac_f64_e32 v[16:17], -0.5, v[74:75]
	v_add_f64 v[74:75], v[90:91], -v[94:95]
	v_add_f64 v[78:79], v[90:91], v[94:95]
	v_add_f64 v[66:67], v[66:67], v[76:77]
	v_fma_f64 v[76:77], s[2:3], v[74:75], v[16:17]
	v_fmac_f64_e32 v[16:17], s[4:5], v[74:75]
	v_add_f64 v[74:75], v[18:19], v[90:91]
	v_fmac_f64_e32 v[18:19], -0.5, v[78:79]
	v_add_f64 v[88:89], v[88:89], -v[92:93]
	v_fma_f64 v[78:79], s[4:5], v[88:89], v[18:19]
	v_fmac_f64_e32 v[18:19], s[2:3], v[88:89]
	s_waitcnt lgkmcnt(13)
	v_add_f64 v[88:89], v[20:21], v[104:105]
	v_add_f64 v[72:73], v[72:73], v[92:93]
	s_waitcnt lgkmcnt(12)
	v_add_f64 v[92:93], v[88:89], v[108:109]
	v_add_f64 v[88:89], v[104:105], v[108:109]
	v_fmac_f64_e32 v[20:21], -0.5, v[88:89]
	v_add_f64 v[90:91], v[106:107], -v[110:111]
	v_fma_f64 v[88:89], s[2:3], v[90:91], v[20:21]
	v_fmac_f64_e32 v[20:21], s[4:5], v[90:91]
	v_add_f64 v[90:91], v[22:23], v[106:107]
	v_add_f64 v[74:75], v[74:75], v[94:95]
	;; [unrolled: 1-line block ×4, first 2 shown]
	v_fmac_f64_e32 v[22:23], -0.5, v[90:91]
	v_add_f64 v[104:105], v[104:105], -v[108:109]
	v_fma_f64 v[90:91], s[4:5], v[104:105], v[22:23]
	v_fmac_f64_e32 v[22:23], s[2:3], v[104:105]
	s_waitcnt lgkmcnt(10)
	v_add_f64 v[104:105], v[28:29], v[120:121]
	s_waitcnt lgkmcnt(9)
	v_add_f64 v[108:109], v[104:105], v[124:125]
	v_add_f64 v[104:105], v[120:121], v[124:125]
	v_fmac_f64_e32 v[28:29], -0.5, v[104:105]
	v_add_f64 v[106:107], v[122:123], -v[126:127]
	v_fma_f64 v[104:105], s[2:3], v[106:107], v[28:29]
	v_fmac_f64_e32 v[28:29], s[4:5], v[106:107]
	v_add_f64 v[106:107], v[30:31], v[122:123]
	v_add_f64 v[110:111], v[106:107], v[126:127]
	;; [unrolled: 1-line block ×3, first 2 shown]
	v_fmac_f64_e32 v[30:31], -0.5, v[106:107]
	v_add_f64 v[120:121], v[120:121], -v[124:125]
	v_fma_f64 v[106:107], s[4:5], v[120:121], v[30:31]
	v_fmac_f64_e32 v[30:31], s[2:3], v[120:121]
	s_waitcnt lgkmcnt(7)
	v_add_f64 v[120:121], v[32:33], v[112:113]
	s_waitcnt lgkmcnt(6)
	v_add_f64 v[124:125], v[120:121], v[116:117]
	v_add_f64 v[120:121], v[112:113], v[116:117]
	v_fmac_f64_e32 v[32:33], -0.5, v[120:121]
	v_add_f64 v[122:123], v[114:115], -v[118:119]
	v_fma_f64 v[120:121], s[2:3], v[122:123], v[32:33]
	v_fmac_f64_e32 v[32:33], s[4:5], v[122:123]
	v_add_f64 v[122:123], v[34:35], v[114:115]
	v_add_f64 v[114:115], v[114:115], v[118:119]
	v_fmac_f64_e32 v[34:35], -0.5, v[114:115]
	v_add_f64 v[112:113], v[112:113], -v[116:117]
	v_add_f64 v[126:127], v[122:123], v[118:119]
	v_fma_f64 v[122:123], s[4:5], v[112:113], v[34:35]
	v_fmac_f64_e32 v[34:35], s[2:3], v[112:113]
	s_waitcnt lgkmcnt(4)
	v_add_f64 v[112:113], v[24:25], v[80:81]
	s_waitcnt lgkmcnt(3)
	v_add_f64 v[116:117], v[112:113], v[84:85]
	v_add_f64 v[112:113], v[80:81], v[84:85]
	v_fmac_f64_e32 v[24:25], -0.5, v[112:113]
	v_add_f64 v[114:115], v[82:83], -v[86:87]
	v_fma_f64 v[112:113], s[2:3], v[114:115], v[24:25]
	v_fmac_f64_e32 v[24:25], s[4:5], v[114:115]
	v_add_f64 v[114:115], v[26:27], v[82:83]
	v_add_f64 v[82:83], v[82:83], v[86:87]
	v_fmac_f64_e32 v[26:27], -0.5, v[82:83]
	v_add_f64 v[80:81], v[80:81], -v[84:85]
	v_add_f64 v[118:119], v[114:115], v[86:87]
	;; [unrolled: 16-line block ×3, first 2 shown]
	v_fma_f64 v[82:83], s[4:5], v[56:57], v[14:15]
	v_fmac_f64_e32 v[14:15], s[2:3], v[56:57]
	v_mul_lo_u16_e32 v56, 3, v171
	v_lshlrev_b32_e32 v56, 4, v56
	s_barrier
	ds_write_b128 v56, v[100:103]
	ds_write_b128 v56, v[96:99] offset:16
	ds_write_b128 v56, v[36:39] offset:32
	v_mul_u32_u24_e32 v36, 3, v162
	v_lshlrev_b32_e32 v36, 4, v36
	buffer_store_dword v56, off, s[36:39], 0 offset:8 ; 4-byte Folded Spill
	ds_write_b128 v36, v[44:47]
	buffer_store_dword v36, off, s[36:39], 0 offset:28 ; 4-byte Folded Spill
	ds_write_b128 v36, v[40:43] offset:16
	ds_write_b128 v36, v[0:3] offset:32
	v_mul_u32_u24_e32 v0, 3, v163
	v_add_f64 v[48:49], v[48:49], v[128:129]
	v_add_f64 v[50:51], v[50:51], v[130:131]
	v_lshlrev_b32_e32 v0, 4, v0
	buffer_store_dword v0, off, s[36:39], 0 offset:24 ; 4-byte Folded Spill
	ds_write_b128 v0, v[48:51]
	ds_write_b128 v0, v[52:55] offset:16
	ds_write_b128 v0, v[4:7] offset:32
	v_mul_u32_u24_e32 v0, 3, v194
	v_lshlrev_b32_e32 v0, 4, v0
	buffer_store_dword v0, off, s[36:39], 0 offset:548 ; 4-byte Folded Spill
	ds_write_b128 v0, v[64:67]
	ds_write_b128 v0, v[68:71] offset:16
	ds_write_b128 v0, v[8:11] offset:32
	v_mul_u32_u24_e32 v0, 3, v132
	;; [unrolled: 6-line block ×5, first 2 shown]
	v_lshlrev_b32_e32 v0, 4, v0
	buffer_store_dword v0, off, s[36:39], 0 offset:12 ; 4-byte Folded Spill
	ds_write_b128 v0, v[124:127]
	ds_write_b128 v0, v[120:123] offset:16
	ds_write_b128 v0, v[32:35] offset:32
	v_mul_lo_u16_sdwa v120, v171, s6 dst_sel:DWORD dst_unused:UNUSED_PAD src0_sel:BYTE_0 src1_sel:DWORD
	v_lshrrev_b16_e32 v165, 9, v120
	v_mul_u32_u24_e32 v0, 3, v180
	v_mul_lo_u16_e32 v120, 3, v165
	v_lshlrev_b32_e32 v0, 4, v0
	v_sub_u16_e32 v120, v171, v120
	buffer_store_dword v0, off, s[36:39], 0 offset:4 ; 4-byte Folded Spill
	ds_write_b128 v0, v[116:119]
	ds_write_b128 v0, v[112:115] offset:16
	ds_write_b128 v0, v[24:27] offset:32
	v_mul_u32_u24_e32 v0, 3, v205
	v_and_b32_e32 v166, 0xff, v120
	v_pk_mov_b32 v[120:121], s[10:11], s[10:11] op_sel:[0,1]
	v_lshlrev_b32_e32 v0, 4, v0
	v_mad_u64_u32 v[122:123], s[8:9], v166, s29, v[120:121]
	buffer_store_dword v0, off, s[36:39], 0 ; 4-byte Folded Spill
	ds_write_b128 v0, v[84:87]
	ds_write_b128 v0, v[80:83] offset:16
	ds_write_b128 v0, v[12:15] offset:32
	s_waitcnt lgkmcnt(0)
	s_barrier
	ds_read_b128 v[40:43], v185
	ds_read_b128 v[116:119], v185 offset:4320
	ds_read_b128 v[112:115], v185 offset:8640
	;; [unrolled: 1-line block ×29, first 2 shown]
	global_load_dwordx4 v[134:137], v[122:123], off offset:48
	global_load_dwordx4 v[130:133], v[122:123], off offset:32
	;; [unrolled: 1-line block ×3, first 2 shown]
	global_load_dwordx4 v[142:145], v[122:123], off
	s_waitcnt vmcnt(0)
	buffer_store_dword v142, off, s[36:39], 0 offset:576 ; 4-byte Folded Spill
	s_nop 0
	buffer_store_dword v143, off, s[36:39], 0 offset:580 ; 4-byte Folded Spill
	buffer_store_dword v144, off, s[36:39], 0 offset:584 ; 4-byte Folded Spill
	;; [unrolled: 1-line block ×4, first 2 shown]
	s_nop 0
	buffer_store_dword v139, off, s[36:39], 0 offset:564 ; 4-byte Folded Spill
	buffer_store_dword v140, off, s[36:39], 0 offset:568 ; 4-byte Folded Spill
	;; [unrolled: 1-line block ×3, first 2 shown]
	s_mov_b32 s8, 0x134454ff
	s_mov_b32 s9, 0x3fee6f0e
	;; [unrolled: 1-line block ×3, first 2 shown]
	s_movk_i32 s11, 0x89
	s_waitcnt lgkmcnt(14)
	v_mul_f64 v[124:125], v[118:119], v[144:145]
	v_mul_f64 v[128:129], v[116:117], v[144:145]
	v_fma_f64 v[126:127], v[116:117], v[142:143], -v[124:125]
	v_fmac_f64_e32 v[128:129], v[118:119], v[142:143]
	v_mul_f64 v[116:117], v[114:115], v[140:141]
	v_mul_f64 v[142:143], v[112:113], v[140:141]
	v_fma_f64 v[146:147], v[112:113], v[138:139], -v[116:117]
	v_fmac_f64_e32 v[142:143], v[114:115], v[138:139]
	v_pk_mov_b32 v[114:115], v[130:131], v[130:131] op_sel:[0,1]
	v_pk_mov_b32 v[116:117], v[132:133], v[132:133] op_sel:[0,1]
	buffer_store_dword v114, off, s[36:39], 0 offset:528 ; 4-byte Folded Spill
	s_nop 0
	buffer_store_dword v115, off, s[36:39], 0 offset:532 ; 4-byte Folded Spill
	buffer_store_dword v116, off, s[36:39], 0 offset:536 ; 4-byte Folded Spill
	;; [unrolled: 1-line block ×4, first 2 shown]
	s_nop 0
	buffer_store_dword v135, off, s[36:39], 0 offset:516 ; 4-byte Folded Spill
	buffer_store_dword v136, off, s[36:39], 0 offset:520 ; 4-byte Folded Spill
	;; [unrolled: 1-line block ×3, first 2 shown]
	v_mul_f64 v[112:113], v[110:111], v[116:117]
	v_fma_f64 v[132:133], v[108:109], v[114:115], -v[112:113]
	v_mul_f64 v[130:131], v[108:109], v[116:117]
	v_mul_f64 v[108:109], v[106:107], v[136:137]
	;; [unrolled: 1-line block ×3, first 2 shown]
	v_fmac_f64_e32 v[130:131], v[110:111], v[114:115]
	v_fma_f64 v[148:149], v[104:105], v[134:135], -v[108:109]
	v_fmac_f64_e32 v[144:145], v[106:107], v[134:135]
	global_load_dwordx4 v[106:109], v[122:123], off offset:112
	global_load_dwordx4 v[110:113], v[122:123], off offset:96
	;; [unrolled: 1-line block ×4, first 2 shown]
	s_waitcnt vmcnt(0)
	buffer_store_dword v150, off, s[36:39], 0 offset:640 ; 4-byte Folded Spill
	s_nop 0
	buffer_store_dword v151, off, s[36:39], 0 offset:644 ; 4-byte Folded Spill
	buffer_store_dword v152, off, s[36:39], 0 offset:648 ; 4-byte Folded Spill
	buffer_store_dword v153, off, s[36:39], 0 offset:652 ; 4-byte Folded Spill
	buffer_store_dword v114, off, s[36:39], 0 offset:624 ; 4-byte Folded Spill
	s_nop 0
	buffer_store_dword v115, off, s[36:39], 0 offset:628 ; 4-byte Folded Spill
	buffer_store_dword v116, off, s[36:39], 0 offset:632 ; 4-byte Folded Spill
	buffer_store_dword v117, off, s[36:39], 0 offset:636 ; 4-byte Folded Spill
	;; [unrolled: 5-line block ×4, first 2 shown]
	v_mul_f64 v[104:105], v[102:103], v[152:153]
	v_fma_f64 v[138:139], v[100:101], v[150:151], -v[104:105]
	v_mul_f64 v[134:135], v[100:101], v[152:153]
	v_mul_f64 v[100:101], v[98:99], v[116:117]
	v_fma_f64 v[158:159], v[96:97], v[114:115], -v[100:101]
	v_mul_f64 v[152:153], v[96:97], v[116:117]
	;; [unrolled: 3-line block ×3, first 2 shown]
	v_mul_f64 v[92:93], v[90:91], v[108:109]
	v_mul_f64 v[154:155], v[88:89], v[108:109]
	v_fma_f64 v[160:161], v[88:89], v[106:107], -v[92:93]
	v_fmac_f64_e32 v[154:155], v[90:91], v[106:107]
	global_load_dwordx4 v[90:93], v[122:123], off offset:128
	v_fmac_f64_e32 v[134:135], v[102:103], v[150:151]
	v_fmac_f64_e32 v[152:153], v[98:99], v[114:115]
	;; [unrolled: 1-line block ×3, first 2 shown]
	s_waitcnt vmcnt(0)
	v_mul_f64 v[88:89], v[86:87], v[92:93]
	v_fma_f64 v[156:157], v[84:85], v[90:91], -v[88:89]
	v_mul_f64 v[150:151], v[84:85], v[92:93]
	v_mul_lo_u16_sdwa v84, v162, s6 dst_sel:DWORD dst_unused:UNUSED_PAD src0_sel:BYTE_0 src1_sel:DWORD
	v_lshrrev_b16_e32 v167, 9, v84
	v_mul_lo_u16_e32 v84, 3, v167
	v_sub_u16_e32 v84, v162, v84
	v_and_b32_e32 v169, 0xff, v84
	v_accvgpr_write_b32 a171, v93
	v_mad_u64_u32 v[84:85], s[6:7], v169, s29, v[120:121]
	v_fmac_f64_e32 v[150:151], v[86:87], v[90:91]
	v_accvgpr_write_b32 a170, v92
	v_accvgpr_write_b32 a169, v91
	v_accvgpr_write_b32 a168, v90
	global_load_dwordx4 v[88:91], v[84:85], off offset:48
	global_load_dwordx4 v[92:95], v[84:85], off offset:32
	;; [unrolled: 1-line block ×3, first 2 shown]
	global_load_dwordx4 v[100:103], v[84:85], off
	s_mov_b32 s6, 0xaaab
	s_waitcnt vmcnt(3)
	v_accvgpr_write_b32 a219, v91
	s_waitcnt vmcnt(2)
	v_accvgpr_write_b32 a231, v95
	;; [unrolled: 2-line block ×3, first 2 shown]
	s_waitcnt vmcnt(0)
	v_mul_f64 v[86:87], v[82:83], v[102:103]
	v_fma_f64 v[122:123], v[80:81], v[100:101], -v[86:87]
	v_mul_f64 v[80:81], v[80:81], v[102:103]
	v_fmac_f64_e32 v[80:81], v[82:83], v[100:101]
	v_mul_f64 v[82:83], v[78:79], v[98:99]
	v_fma_f64 v[124:125], v[76:77], v[96:97], -v[82:83]
	v_mul_f64 v[82:83], v[76:77], v[98:99]
	v_mul_f64 v[76:77], v[74:75], v[94:95]
	v_fma_f64 v[76:77], v[72:73], v[92:93], -v[76:77]
	v_mul_f64 v[72:73], v[72:73], v[94:95]
	v_fmac_f64_e32 v[72:73], v[74:75], v[92:93]
	v_mul_f64 v[74:75], v[70:71], v[90:91]
	v_accvgpr_write_b32 a239, v103
	v_fmac_f64_e32 v[82:83], v[78:79], v[96:97]
	v_fma_f64 v[78:79], v[68:69], v[88:89], -v[74:75]
	v_mul_f64 v[74:75], v[68:69], v[90:91]
	v_accvgpr_write_b32 a238, v102
	v_accvgpr_write_b32 a237, v101
	;; [unrolled: 1-line block ×9, first 2 shown]
	v_fmac_f64_e32 v[74:75], v[70:71], v[88:89]
	v_accvgpr_write_b32 a218, v90
	v_accvgpr_write_b32 a217, v89
	v_accvgpr_write_b32 a216, v88
	global_load_dwordx4 v[86:89], v[84:85], off offset:112
	global_load_dwordx4 v[90:93], v[84:85], off offset:96
	;; [unrolled: 1-line block ×4, first 2 shown]
	s_waitcnt vmcnt(3)
	v_accvgpr_write_b32 a179, v89
	v_accvgpr_write_b32 a178, v88
	;; [unrolled: 1-line block ×3, first 2 shown]
	s_waitcnt vmcnt(0)
	v_mul_f64 v[68:69], v[66:67], v[100:101]
	v_fma_f64 v[68:69], v[64:65], v[98:99], -v[68:69]
	v_mul_f64 v[64:65], v[64:65], v[100:101]
	v_fmac_f64_e32 v[64:65], v[66:67], v[98:99]
	s_waitcnt lgkmcnt(13)
	v_mul_f64 v[66:67], v[62:63], v[96:97]
	v_fma_f64 v[70:71], v[60:61], v[94:95], -v[66:67]
	v_mul_f64 v[66:67], v[60:61], v[96:97]
	s_waitcnt lgkmcnt(12)
	v_mul_f64 v[60:61], v[58:59], v[92:93]
	v_fma_f64 v[60:61], v[56:57], v[90:91], -v[60:61]
	v_mul_f64 v[56:57], v[56:57], v[92:93]
	v_fmac_f64_e32 v[56:57], v[58:59], v[90:91]
	s_waitcnt lgkmcnt(11)
	v_mul_f64 v[58:59], v[54:55], v[88:89]
	v_fmac_f64_e32 v[66:67], v[62:63], v[94:95]
	v_fma_f64 v[62:63], v[52:53], v[86:87], -v[58:59]
	v_mul_f64 v[58:59], v[52:53], v[88:89]
	v_fmac_f64_e32 v[58:59], v[54:55], v[86:87]
	v_accvgpr_write_b32 a176, v86
	global_load_dwordx4 v[84:87], v[84:85], off offset:128
	v_accvgpr_write_b32 a207, v97
	v_accvgpr_write_b32 a191, v93
	;; [unrolled: 1-line block ×12, first 2 shown]
	s_waitcnt vmcnt(0) lgkmcnt(10)
	v_mul_f64 v[52:53], v[50:51], v[86:87]
	v_fma_f64 v[52:53], v[48:49], v[84:85], -v[52:53]
	v_mul_f64 v[48:49], v[48:49], v[86:87]
	v_fmac_f64_e32 v[48:49], v[50:51], v[84:85]
	v_mul_u32_u24_sdwa v50, v163, s6 dst_sel:DWORD dst_unused:UNUSED_PAD src0_sel:WORD_0 src1_sel:DWORD
	v_lshrrev_b32_e32 v168, 17, v50
	v_mul_lo_u16_e32 v50, 3, v168
	v_sub_u16_e32 v170, v163, v50
	v_mul_lo_u16_e32 v50, 0x90, v170
	v_add_co_u32_e32 v50, vcc, s10, v50
	v_accvgpr_write_b32 a175, v87
	v_addc_co_u32_e32 v51, vcc, 0, v176, vcc
	v_accvgpr_write_b32 a174, v86
	v_accvgpr_write_b32 a173, v85
	v_accvgpr_write_b32 a172, v84
	global_load_dwordx4 v[86:89], v[50:51], off offset:48
	global_load_dwordx4 v[90:93], v[50:51], off offset:32
	;; [unrolled: 1-line block ×3, first 2 shown]
	global_load_dwordx4 v[104:107], v[50:51], off
	s_mov_b32 s6, 0x4755a5e
	s_mov_b32 s7, 0x3fe2cf23
	;; [unrolled: 1-line block ×3, first 2 shown]
	s_waitcnt vmcnt(3)
	v_accvgpr_write_b32 a199, v89
	v_accvgpr_write_b32 a198, v88
	;; [unrolled: 1-line block ×3, first 2 shown]
	s_waitcnt vmcnt(0) lgkmcnt(8)
	v_mul_f64 v[54:55], v[46:47], v[106:107]
	v_fma_f64 v[98:99], v[44:45], v[104:105], -v[54:55]
	v_mul_f64 v[102:103], v[44:45], v[106:107]
	s_waitcnt lgkmcnt(7)
	v_mul_f64 v[44:45], v[38:39], v[96:97]
	v_fmac_f64_e32 v[102:103], v[46:47], v[104:105]
	v_fma_f64 v[112:113], v[36:37], v[94:95], -v[44:45]
	v_pk_mov_b32 v[44:45], v[90:91], v[90:91] op_sel:[0,1]
	v_accvgpr_write_b32 a227, v107
	v_pk_mov_b32 v[46:47], v[92:93], v[92:93] op_sel:[0,1]
	v_accvgpr_write_b32 a226, v106
	v_accvgpr_write_b32 a225, v105
	v_accvgpr_write_b32 a224, v104
	v_mul_f64 v[104:105], v[36:37], v[96:97]
	s_waitcnt lgkmcnt(6)
	v_mul_f64 v[36:37], v[34:35], v[46:47]
	v_fma_f64 v[92:93], v[32:33], v[44:45], -v[36:37]
	v_mul_f64 v[84:85], v[32:33], v[46:47]
	v_accvgpr_write_b32 a203, v47
	s_waitcnt lgkmcnt(5)
	v_mul_f64 v[32:33], v[30:31], v[88:89]
	v_mul_f64 v[106:107], v[28:29], v[88:89]
	v_fmac_f64_e32 v[84:85], v[34:35], v[44:45]
	v_accvgpr_write_b32 a202, v46
	v_accvgpr_write_b32 a201, v45
	;; [unrolled: 1-line block ×3, first 2 shown]
	v_fma_f64 v[114:115], v[28:29], v[86:87], -v[32:33]
	v_fmac_f64_e32 v[106:107], v[30:31], v[86:87]
	v_accvgpr_write_b32 a196, v86
	global_load_dwordx4 v[30:33], v[50:51], off offset:112
	global_load_dwordx4 v[34:37], v[50:51], off offset:96
	;; [unrolled: 1-line block ×4, first 2 shown]
	v_accvgpr_write_b32 a215, v97
	v_fmac_f64_e32 v[104:105], v[38:39], v[94:95]
	v_accvgpr_write_b32 a214, v96
	v_accvgpr_write_b32 a213, v95
	;; [unrolled: 1-line block ×3, first 2 shown]
	s_waitcnt vmcnt(3) lgkmcnt(1)
	v_mul_f64 v[110:111], v[12:13], v[32:33]
	v_fmac_f64_e32 v[110:111], v[14:15], v[30:31]
	s_waitcnt vmcnt(1)
	v_mul_f64 v[108:109], v[20:21], v[46:47]
	s_waitcnt vmcnt(0)
	v_mul_f64 v[28:29], v[26:27], v[90:91]
	v_fma_f64 v[94:95], v[24:25], v[88:89], -v[28:29]
	v_mul_f64 v[86:87], v[24:25], v[90:91]
	v_mul_f64 v[24:25], v[22:23], v[46:47]
	v_accvgpr_write_b32 a211, v91
	v_fma_f64 v[116:117], v[20:21], v[44:45], -v[24:25]
	v_mul_f64 v[20:21], v[18:19], v[36:37]
	v_fmac_f64_e32 v[86:87], v[26:27], v[88:89]
	v_accvgpr_write_b32 a210, v90
	v_accvgpr_write_b32 a209, v89
	;; [unrolled: 1-line block ×3, first 2 shown]
	v_fma_f64 v[96:97], v[16:17], v[34:35], -v[20:21]
	v_mul_f64 v[88:89], v[16:17], v[36:37]
	v_mul_f64 v[16:17], v[14:15], v[32:33]
	v_fma_f64 v[118:119], v[12:13], v[30:31], -v[16:17]
	global_load_dwordx4 v[14:17], v[50:51], off offset:128
	s_waitcnt vmcnt(0)
	buffer_store_dword v14, off, s[36:39], 0 offset:656 ; 4-byte Folded Spill
	s_nop 0
	buffer_store_dword v15, off, s[36:39], 0 offset:660 ; 4-byte Folded Spill
	buffer_store_dword v16, off, s[36:39], 0 offset:664 ; 4-byte Folded Spill
	;; [unrolled: 1-line block ×3, first 2 shown]
	v_accvgpr_write_b32 a183, v33
	v_accvgpr_write_b32 a182, v32
	;; [unrolled: 1-line block ×5, first 2 shown]
	v_fmac_f64_e32 v[88:89], v[18:19], v[34:35]
	v_accvgpr_write_b32 a186, v36
	v_accvgpr_write_b32 a185, v35
	;; [unrolled: 1-line block ×7, first 2 shown]
	v_fmac_f64_e32 v[108:109], v[22:23], v[44:45]
	v_add_f64 v[18:19], v[150:151], -v[136:137]
	s_waitcnt lgkmcnt(0)
	s_barrier
	v_mul_f64 v[12:13], v[10:11], v[16:17]
	v_fma_f64 v[100:101], v[8:9], v[14:15], -v[12:13]
	v_mul_f64 v[90:91], v[8:9], v[16:17]
	v_add_f64 v[8:9], v[40:41], v[146:147]
	v_add_f64 v[8:9], v[8:9], v[148:149]
	;; [unrolled: 1-line block ×5, first 2 shown]
	v_fma_f64 v[30:31], -0.5, v[8:9], v[40:41]
	v_add_f64 v[8:9], v[142:143], -v[154:155]
	v_fmac_f64_e32 v[90:91], v[10:11], v[14:15]
	v_fma_f64 v[32:33], s[8:9], v[8:9], v[30:31]
	v_add_f64 v[10:11], v[144:145], -v[152:153]
	v_add_f64 v[12:13], v[146:147], -v[148:149]
	v_add_f64 v[14:15], v[160:161], -v[158:159]
	v_fmac_f64_e32 v[30:31], s[18:19], v[8:9]
	v_fmac_f64_e32 v[32:33], s[6:7], v[10:11]
	v_add_f64 v[12:13], v[12:13], v[14:15]
	v_fmac_f64_e32 v[30:31], s[16:17], v[10:11]
	v_fmac_f64_e32 v[32:33], s[14:15], v[12:13]
	v_fmac_f64_e32 v[30:31], s[14:15], v[12:13]
	v_add_f64 v[12:13], v[146:147], v[160:161]
	v_fmac_f64_e32 v[40:41], -0.5, v[12:13]
	v_fma_f64 v[38:39], s[18:19], v[10:11], v[40:41]
	v_fmac_f64_e32 v[40:41], s[8:9], v[10:11]
	v_fmac_f64_e32 v[38:39], s[6:7], v[8:9]
	v_fmac_f64_e32 v[40:41], s[16:17], v[8:9]
	v_add_f64 v[8:9], v[42:43], v[142:143]
	v_add_f64 v[8:9], v[8:9], v[144:145]
	v_add_f64 v[8:9], v[8:9], v[152:153]
	v_add_f64 v[12:13], v[148:149], -v[146:147]
	v_add_f64 v[14:15], v[158:159], -v[160:161]
	v_add_f64 v[34:35], v[8:9], v[154:155]
	v_add_f64 v[8:9], v[144:145], v[152:153]
	v_add_f64 v[12:13], v[12:13], v[14:15]
	v_fma_f64 v[50:51], -0.5, v[8:9], v[42:43]
	v_add_f64 v[8:9], v[146:147], -v[160:161]
	v_fmac_f64_e32 v[38:39], s[14:15], v[12:13]
	v_fmac_f64_e32 v[40:41], s[14:15], v[12:13]
	v_fma_f64 v[46:47], s[18:19], v[8:9], v[50:51]
	v_add_f64 v[10:11], v[148:149], -v[158:159]
	v_add_f64 v[12:13], v[142:143], -v[144:145]
	v_add_f64 v[14:15], v[154:155], -v[152:153]
	v_fmac_f64_e32 v[50:51], s[8:9], v[8:9]
	v_fmac_f64_e32 v[46:47], s[16:17], v[10:11]
	v_add_f64 v[12:13], v[12:13], v[14:15]
	v_fmac_f64_e32 v[50:51], s[6:7], v[10:11]
	v_fmac_f64_e32 v[46:47], s[14:15], v[12:13]
	v_fmac_f64_e32 v[50:51], s[14:15], v[12:13]
	v_add_f64 v[12:13], v[142:143], v[154:155]
	v_fmac_f64_e32 v[42:43], -0.5, v[12:13]
	v_fma_f64 v[54:55], s[8:9], v[10:11], v[42:43]
	v_fmac_f64_e32 v[42:43], s[18:19], v[10:11]
	v_fmac_f64_e32 v[54:55], s[16:17], v[8:9]
	v_fmac_f64_e32 v[42:43], s[6:7], v[8:9]
	v_add_f64 v[8:9], v[126:127], v[132:133]
	v_add_f64 v[8:9], v[8:9], v[138:139]
	v_add_f64 v[8:9], v[8:9], v[140:141]
	v_add_f64 v[12:13], v[144:145], -v[142:143]
	v_add_f64 v[14:15], v[152:153], -v[154:155]
	v_add_f64 v[36:37], v[8:9], v[156:157]
	v_add_f64 v[8:9], v[138:139], v[140:141]
	v_add_f64 v[12:13], v[12:13], v[14:15]
	v_fma_f64 v[22:23], -0.5, v[8:9], v[126:127]
	v_add_f64 v[8:9], v[130:131], -v[150:151]
	v_fmac_f64_e32 v[54:55], s[14:15], v[12:13]
	;; [unrolled: 28-line block ×3, first 2 shown]
	v_fmac_f64_e32 v[126:127], s[14:15], v[14:15]
	v_fma_f64 v[14:15], s[18:19], v[8:9], v[44:45]
	v_add_f64 v[12:13], v[138:139], -v[140:141]
	v_add_f64 v[16:17], v[130:131], -v[134:135]
	v_fmac_f64_e32 v[44:45], s[8:9], v[8:9]
	v_fmac_f64_e32 v[14:15], s[16:17], v[12:13]
	v_add_f64 v[16:17], v[16:17], v[18:19]
	v_fmac_f64_e32 v[44:45], s[6:7], v[12:13]
	v_fmac_f64_e32 v[14:15], s[14:15], v[16:17]
	;; [unrolled: 1-line block ×3, first 2 shown]
	v_add_f64 v[16:17], v[130:131], v[150:151]
	v_fmac_f64_e32 v[128:129], -0.5, v[16:17]
	v_fma_f64 v[132:133], s[8:9], v[12:13], v[128:129]
	v_add_f64 v[16:17], v[134:135], -v[130:131]
	v_add_f64 v[18:19], v[136:137], -v[150:151]
	v_fmac_f64_e32 v[128:129], s[18:19], v[12:13]
	v_add_f64 v[16:17], v[16:17], v[18:19]
	v_fmac_f64_e32 v[128:129], s[6:7], v[8:9]
	v_fmac_f64_e32 v[132:133], s[16:17], v[8:9]
	;; [unrolled: 1-line block ×3, first 2 shown]
	v_mul_f64 v[136:137], v[126:127], s[22:23]
	v_fmac_f64_e32 v[132:133], s[14:15], v[16:17]
	v_fmac_f64_e32 v[136:137], s[8:9], v[128:129]
	v_mul_f64 v[128:129], v[128:129], s[22:23]
	v_mul_f64 v[134:135], v[132:133], s[8:9]
	;; [unrolled: 1-line block ×3, first 2 shown]
	v_fmac_f64_e32 v[128:129], s[18:19], v[126:127]
	v_mul_f64 v[126:127], v[44:45], s[20:21]
	v_fmac_f64_e32 v[134:135], s[14:15], v[26:27]
	v_fmac_f64_e32 v[140:141], s[24:25], v[14:15]
	;; [unrolled: 1-line block ×3, first 2 shown]
	v_add_f64 v[16:17], v[28:29], v[36:37]
	v_mul_f64 v[130:131], v[14:15], s[6:7]
	v_add_f64 v[8:9], v[38:39], v[134:135]
	v_mul_f64 v[138:139], v[22:23], s[20:21]
	v_add_f64 v[18:19], v[34:35], v[142:143]
	v_add_f64 v[14:15], v[46:47], v[140:141]
	v_mul_f64 v[144:145], v[26:27], s[18:19]
	v_add_f64 v[26:27], v[42:43], v[128:129]
	v_add_f64 v[22:23], v[50:51], v[126:127]
	v_add_f64 v[36:37], v[28:29], -v[36:37]
	v_add_f64 v[28:29], v[38:39], -v[134:135]
	;; [unrolled: 1-line block ×6, first 2 shown]
	v_add_f64 v[50:51], v[4:5], v[124:125]
	v_add_f64 v[50:51], v[50:51], v[78:79]
	;; [unrolled: 1-line block ×5, first 2 shown]
	v_fmac_f64_e32 v[130:131], s[24:25], v[10:11]
	v_fmac_f64_e32 v[138:139], s[6:7], v[44:45]
	;; [unrolled: 1-line block ×3, first 2 shown]
	v_fma_f64 v[128:129], -0.5, v[50:51], v[4:5]
	v_add_f64 v[50:51], v[82:83], -v[58:59]
	v_add_f64 v[12:13], v[32:33], v[130:131]
	v_add_f64 v[24:25], v[40:41], v[136:137]
	;; [unrolled: 1-line block ×4, first 2 shown]
	v_add_f64 v[32:33], v[32:33], -v[130:131]
	v_add_f64 v[44:45], v[40:41], -v[136:137]
	;; [unrolled: 1-line block ×4, first 2 shown]
	v_fma_f64 v[130:131], s[8:9], v[50:51], v[128:129]
	v_add_f64 v[54:55], v[74:75], -v[66:67]
	v_add_f64 v[132:133], v[124:125], -v[78:79]
	;; [unrolled: 1-line block ×3, first 2 shown]
	v_fmac_f64_e32 v[128:129], s[18:19], v[50:51]
	v_fmac_f64_e32 v[130:131], s[6:7], v[54:55]
	v_add_f64 v[132:133], v[132:133], v[134:135]
	v_fmac_f64_e32 v[128:129], s[16:17], v[54:55]
	v_fmac_f64_e32 v[130:131], s[14:15], v[132:133]
	;; [unrolled: 1-line block ×3, first 2 shown]
	v_add_f64 v[132:133], v[124:125], v[62:63]
	v_fmac_f64_e32 v[4:5], -0.5, v[132:133]
	v_fma_f64 v[136:137], s[18:19], v[54:55], v[4:5]
	v_fmac_f64_e32 v[4:5], s[8:9], v[54:55]
	v_fmac_f64_e32 v[136:137], s[6:7], v[50:51]
	;; [unrolled: 1-line block ×3, first 2 shown]
	v_add_f64 v[50:51], v[6:7], v[82:83]
	v_add_f64 v[132:133], v[78:79], -v[124:125]
	v_add_f64 v[134:135], v[70:71], -v[62:63]
	v_add_f64 v[50:51], v[50:51], v[74:75]
	v_add_f64 v[132:133], v[132:133], v[134:135]
	v_add_f64 v[50:51], v[50:51], v[66:67]
	v_fmac_f64_e32 v[136:137], s[14:15], v[132:133]
	v_fmac_f64_e32 v[4:5], s[14:15], v[132:133]
	v_add_f64 v[132:133], v[50:51], v[58:59]
	v_add_f64 v[50:51], v[74:75], v[66:67]
	v_fma_f64 v[134:135], -0.5, v[50:51], v[6:7]
	v_add_f64 v[50:51], v[124:125], -v[62:63]
	v_fma_f64 v[124:125], s[18:19], v[50:51], v[134:135]
	v_add_f64 v[54:55], v[78:79], -v[70:71]
	v_add_f64 v[62:63], v[82:83], -v[74:75]
	;; [unrolled: 1-line block ×3, first 2 shown]
	v_fmac_f64_e32 v[134:135], s[8:9], v[50:51]
	v_fmac_f64_e32 v[124:125], s[16:17], v[54:55]
	v_add_f64 v[62:63], v[62:63], v[70:71]
	v_fmac_f64_e32 v[134:135], s[6:7], v[54:55]
	v_fmac_f64_e32 v[124:125], s[14:15], v[62:63]
	;; [unrolled: 1-line block ×3, first 2 shown]
	v_add_f64 v[62:63], v[82:83], v[58:59]
	v_fmac_f64_e32 v[6:7], -0.5, v[62:63]
	v_fma_f64 v[70:71], s[8:9], v[54:55], v[6:7]
	v_fmac_f64_e32 v[6:7], s[18:19], v[54:55]
	v_fmac_f64_e32 v[70:71], s[16:17], v[50:51]
	;; [unrolled: 1-line block ×3, first 2 shown]
	v_add_f64 v[50:51], v[122:123], v[76:77]
	v_add_f64 v[50:51], v[50:51], v[68:69]
	;; [unrolled: 1-line block ×3, first 2 shown]
	v_add_f64 v[62:63], v[74:75], -v[82:83]
	v_add_f64 v[58:59], v[66:67], -v[58:59]
	v_add_f64 v[74:75], v[50:51], v[52:53]
	v_add_f64 v[50:51], v[68:69], v[60:61]
	v_add_f64 v[58:59], v[62:63], v[58:59]
	v_fma_f64 v[62:63], -0.5, v[50:51], v[122:123]
	v_add_f64 v[50:51], v[72:73], -v[48:49]
	v_fmac_f64_e32 v[70:71], s[14:15], v[58:59]
	v_fmac_f64_e32 v[6:7], s[14:15], v[58:59]
	v_fma_f64 v[54:55], s[8:9], v[50:51], v[62:63]
	v_add_f64 v[58:59], v[64:65], -v[56:57]
	v_add_f64 v[66:67], v[76:77], -v[68:69]
	;; [unrolled: 1-line block ×3, first 2 shown]
	v_fmac_f64_e32 v[62:63], s[18:19], v[50:51]
	v_fmac_f64_e32 v[54:55], s[6:7], v[58:59]
	v_add_f64 v[66:67], v[66:67], v[78:79]
	v_fmac_f64_e32 v[62:63], s[16:17], v[58:59]
	v_fmac_f64_e32 v[54:55], s[14:15], v[66:67]
	;; [unrolled: 1-line block ×3, first 2 shown]
	v_add_f64 v[66:67], v[76:77], v[52:53]
	v_fmac_f64_e32 v[122:123], -0.5, v[66:67]
	v_fma_f64 v[66:67], s[18:19], v[58:59], v[122:123]
	v_fmac_f64_e32 v[122:123], s[8:9], v[58:59]
	v_fmac_f64_e32 v[66:67], s[6:7], v[50:51]
	;; [unrolled: 1-line block ×3, first 2 shown]
	v_add_f64 v[50:51], v[80:81], v[72:73]
	v_add_f64 v[78:79], v[68:69], -v[76:77]
	v_add_f64 v[82:83], v[60:61], -v[52:53]
	v_add_f64 v[50:51], v[50:51], v[64:65]
	v_add_f64 v[78:79], v[78:79], v[82:83]
	;; [unrolled: 1-line block ×3, first 2 shown]
	v_fmac_f64_e32 v[66:67], s[14:15], v[78:79]
	v_fmac_f64_e32 v[122:123], s[14:15], v[78:79]
	v_add_f64 v[78:79], v[50:51], v[48:49]
	v_add_f64 v[50:51], v[64:65], v[56:57]
	v_fma_f64 v[82:83], -0.5, v[50:51], v[80:81]
	v_add_f64 v[50:51], v[76:77], -v[52:53]
	v_fma_f64 v[76:77], s[18:19], v[50:51], v[82:83]
	v_add_f64 v[52:53], v[68:69], -v[60:61]
	v_add_f64 v[58:59], v[72:73], -v[64:65]
	;; [unrolled: 1-line block ×3, first 2 shown]
	v_fmac_f64_e32 v[82:83], s[8:9], v[50:51]
	v_fmac_f64_e32 v[76:77], s[16:17], v[52:53]
	v_add_f64 v[58:59], v[58:59], v[60:61]
	v_fmac_f64_e32 v[82:83], s[6:7], v[52:53]
	v_fmac_f64_e32 v[76:77], s[14:15], v[58:59]
	;; [unrolled: 1-line block ×3, first 2 shown]
	v_add_f64 v[58:59], v[72:73], v[48:49]
	v_fmac_f64_e32 v[80:81], -0.5, v[58:59]
	v_fma_f64 v[68:69], s[8:9], v[52:53], v[80:81]
	v_add_f64 v[58:59], v[64:65], -v[72:73]
	v_add_f64 v[48:49], v[56:57], -v[48:49]
	v_fmac_f64_e32 v[80:81], s[18:19], v[52:53]
	v_add_f64 v[48:49], v[58:59], v[48:49]
	v_fmac_f64_e32 v[80:81], s[6:7], v[50:51]
	v_fmac_f64_e32 v[80:81], s[14:15], v[48:49]
	;; [unrolled: 1-line block ×3, first 2 shown]
	v_mul_f64 v[148:149], v[80:81], s[22:23]
	v_fmac_f64_e32 v[68:69], s[14:15], v[48:49]
	v_mul_f64 v[140:141], v[122:123], s[22:23]
	v_fmac_f64_e32 v[148:149], s[18:19], v[122:123]
	v_mul_f64 v[122:123], v[82:83], s[20:21]
	v_mul_f64 v[138:139], v[68:69], s[8:9]
	;; [unrolled: 1-line block ×3, first 2 shown]
	v_fmac_f64_e32 v[122:123], s[16:17], v[62:63]
	v_fmac_f64_e32 v[138:139], s[14:15], v[66:67]
	;; [unrolled: 1-line block ×3, first 2 shown]
	v_mul_f64 v[146:147], v[66:67], s[18:19]
	v_add_f64 v[66:67], v[6:7], v[148:149]
	v_add_f64 v[62:63], v[134:135], v[122:123]
	v_add_f64 v[82:83], v[6:7], -v[148:149]
	v_add_f64 v[6:7], v[134:135], -v[122:123]
	v_add_f64 v[122:123], v[0:1], v[112:113]
	v_mul_f64 v[144:145], v[54:55], s[16:17]
	v_add_f64 v[122:123], v[122:123], v[114:115]
	v_mul_f64 v[72:73], v[76:77], s[6:7]
	v_fmac_f64_e32 v[144:145], s[24:25], v[76:77]
	v_add_f64 v[122:123], v[122:123], v[116:117]
	v_add_f64 v[56:57], v[126:127], v[74:75]
	v_fmac_f64_e32 v[72:73], s[24:25], v[54:55]
	v_fmac_f64_e32 v[140:141], s[8:9], v[80:81]
	v_add_f64 v[54:55], v[124:125], v[144:145]
	v_add_f64 v[76:77], v[126:127], -v[74:75]
	v_add_f64 v[74:75], v[124:125], -v[144:145]
	v_add_f64 v[124:125], v[122:123], v[118:119]
	v_add_f64 v[122:123], v[114:115], v[116:117]
	;; [unrolled: 1-line block ×4, first 2 shown]
	v_add_f64 v[80:81], v[4:5], -v[140:141]
	v_add_f64 v[4:5], v[128:129], -v[142:143]
	v_fma_f64 v[128:129], -0.5, v[122:123], v[0:1]
	v_add_f64 v[122:123], v[104:105], -v[110:111]
	v_add_f64 v[52:53], v[130:131], v[72:73]
	v_add_f64 v[58:59], v[132:133], v[78:79]
	v_add_f64 v[72:73], v[130:131], -v[72:73]
	v_add_f64 v[78:79], v[132:133], -v[78:79]
	v_fma_f64 v[130:131], s[8:9], v[122:123], v[128:129]
	v_add_f64 v[126:127], v[106:107], -v[108:109]
	v_add_f64 v[132:133], v[112:113], -v[114:115]
	;; [unrolled: 1-line block ×3, first 2 shown]
	v_fmac_f64_e32 v[128:129], s[18:19], v[122:123]
	v_fmac_f64_e32 v[130:131], s[6:7], v[126:127]
	v_add_f64 v[132:133], v[132:133], v[134:135]
	v_fmac_f64_e32 v[128:129], s[16:17], v[126:127]
	v_fmac_f64_e32 v[130:131], s[14:15], v[132:133]
	;; [unrolled: 1-line block ×3, first 2 shown]
	v_add_f64 v[132:133], v[112:113], v[118:119]
	v_fmac_f64_e32 v[0:1], -0.5, v[132:133]
	v_fma_f64 v[134:135], s[18:19], v[126:127], v[0:1]
	v_fmac_f64_e32 v[0:1], s[8:9], v[126:127]
	v_fmac_f64_e32 v[134:135], s[6:7], v[122:123]
	;; [unrolled: 1-line block ×3, first 2 shown]
	v_add_f64 v[122:123], v[2:3], v[104:105]
	v_add_f64 v[48:49], v[136:137], v[138:139]
	v_fmac_f64_e32 v[146:147], s[14:15], v[68:69]
	v_add_f64 v[68:69], v[136:137], -v[138:139]
	v_add_f64 v[132:133], v[114:115], -v[112:113]
	;; [unrolled: 1-line block ×3, first 2 shown]
	v_add_f64 v[122:123], v[122:123], v[106:107]
	v_add_f64 v[132:133], v[132:133], v[136:137]
	;; [unrolled: 1-line block ×3, first 2 shown]
	v_fmac_f64_e32 v[134:135], s[14:15], v[132:133]
	v_fmac_f64_e32 v[0:1], s[14:15], v[132:133]
	v_add_f64 v[132:133], v[122:123], v[110:111]
	v_add_f64 v[122:123], v[106:107], v[108:109]
	v_fma_f64 v[122:123], -0.5, v[122:123], v[2:3]
	v_add_f64 v[112:113], v[112:113], -v[118:119]
	v_fma_f64 v[118:119], s[18:19], v[112:113], v[122:123]
	v_add_f64 v[114:115], v[114:115], -v[116:117]
	v_add_f64 v[116:117], v[104:105], -v[106:107]
	;; [unrolled: 1-line block ×3, first 2 shown]
	v_fmac_f64_e32 v[122:123], s[8:9], v[112:113]
	v_fmac_f64_e32 v[118:119], s[16:17], v[114:115]
	v_add_f64 v[116:117], v[116:117], v[126:127]
	v_fmac_f64_e32 v[122:123], s[6:7], v[114:115]
	v_fmac_f64_e32 v[118:119], s[14:15], v[116:117]
	;; [unrolled: 1-line block ×3, first 2 shown]
	v_add_f64 v[116:117], v[104:105], v[110:111]
	v_add_f64 v[104:105], v[106:107], -v[104:105]
	v_add_f64 v[106:107], v[108:109], -v[110:111]
	v_fmac_f64_e32 v[2:3], -0.5, v[116:117]
	v_add_f64 v[104:105], v[104:105], v[106:107]
	v_add_f64 v[106:107], v[94:95], v[96:97]
	v_fma_f64 v[136:137], s[8:9], v[114:115], v[2:3]
	v_fmac_f64_e32 v[2:3], s[18:19], v[114:115]
	v_fma_f64 v[106:107], -0.5, v[106:107], v[98:99]
	v_add_f64 v[108:109], v[84:85], -v[90:91]
	v_fmac_f64_e32 v[136:137], s[16:17], v[112:113]
	v_fmac_f64_e32 v[2:3], s[6:7], v[112:113]
	v_fma_f64 v[110:111], s[8:9], v[108:109], v[106:107]
	v_add_f64 v[112:113], v[86:87], -v[88:89]
	v_add_f64 v[114:115], v[92:93], -v[94:95]
	;; [unrolled: 1-line block ×3, first 2 shown]
	v_fmac_f64_e32 v[106:107], s[18:19], v[108:109]
	v_fmac_f64_e32 v[110:111], s[6:7], v[112:113]
	v_add_f64 v[114:115], v[114:115], v[116:117]
	v_fmac_f64_e32 v[106:107], s[16:17], v[112:113]
	v_fmac_f64_e32 v[110:111], s[14:15], v[114:115]
	;; [unrolled: 1-line block ×3, first 2 shown]
	v_add_f64 v[114:115], v[92:93], v[100:101]
	v_fmac_f64_e32 v[136:137], s[14:15], v[104:105]
	v_fmac_f64_e32 v[2:3], s[14:15], v[104:105]
	v_add_f64 v[104:105], v[98:99], v[92:93]
	v_fmac_f64_e32 v[98:99], -0.5, v[114:115]
	v_fma_f64 v[114:115], s[18:19], v[112:113], v[98:99]
	v_fmac_f64_e32 v[98:99], s[8:9], v[112:113]
	v_fmac_f64_e32 v[114:115], s[6:7], v[108:109]
	;; [unrolled: 1-line block ×3, first 2 shown]
	v_add_f64 v[108:109], v[102:103], v[84:85]
	v_add_f64 v[108:109], v[108:109], v[86:87]
	;; [unrolled: 1-line block ×7, first 2 shown]
	v_add_f64 v[116:117], v[94:95], -v[92:93]
	v_fma_f64 v[108:109], -0.5, v[108:109], v[102:103]
	v_add_f64 v[92:93], v[92:93], -v[100:101]
	v_add_f64 v[104:105], v[104:105], v[100:101]
	v_add_f64 v[126:127], v[96:97], -v[100:101]
	v_fma_f64 v[112:113], s[18:19], v[92:93], v[108:109]
	v_add_f64 v[94:95], v[94:95], -v[96:97]
	v_add_f64 v[96:97], v[84:85], -v[86:87]
	;; [unrolled: 1-line block ×3, first 2 shown]
	v_fmac_f64_e32 v[108:109], s[8:9], v[92:93]
	v_fmac_f64_e32 v[112:113], s[16:17], v[94:95]
	v_add_f64 v[96:97], v[96:97], v[100:101]
	v_fmac_f64_e32 v[108:109], s[6:7], v[94:95]
	v_fmac_f64_e32 v[112:113], s[14:15], v[96:97]
	;; [unrolled: 1-line block ×3, first 2 shown]
	v_add_f64 v[96:97], v[84:85], v[90:91]
	v_add_f64 v[116:117], v[116:117], v[126:127]
	v_fmac_f64_e32 v[102:103], -0.5, v[96:97]
	v_fmac_f64_e32 v[114:115], s[14:15], v[116:117]
	v_fmac_f64_e32 v[98:99], s[14:15], v[116:117]
	v_fma_f64 v[116:117], s[8:9], v[94:95], v[102:103]
	v_add_f64 v[84:85], v[86:87], -v[84:85]
	v_add_f64 v[86:87], v[88:89], -v[90:91]
	v_fmac_f64_e32 v[102:103], s[18:19], v[94:95]
	v_add_f64 v[84:85], v[84:85], v[86:87]
	v_fmac_f64_e32 v[102:103], s[6:7], v[92:93]
	v_fmac_f64_e32 v[102:103], s[14:15], v[84:85]
	v_mul_f64 v[140:141], v[112:113], s[6:7]
	v_fmac_f64_e32 v[140:141], s[24:25], v[110:111]
	v_mul_f64 v[110:111], v[110:111], s[16:17]
	v_mul_f64 v[150:151], v[102:103], s[22:23]
	;; [unrolled: 1-line block ×4, first 2 shown]
	v_fmac_f64_e32 v[110:111], s[24:25], v[112:113]
	v_fmac_f64_e32 v[150:151], s[18:19], v[98:99]
	;; [unrolled: 1-line block ×4, first 2 shown]
	v_add_f64 v[90:91], v[118:119], v[110:111]
	v_add_f64 v[102:103], v[2:3], v[150:151]
	;; [unrolled: 1-line block ×3, first 2 shown]
	v_add_f64 v[110:111], v[118:119], -v[110:111]
	v_add_f64 v[118:119], v[2:3], -v[150:151]
	;; [unrolled: 1-line block ×3, first 2 shown]
	v_mul_u32_u24_e32 v122, 30, v165
	v_add_lshl_u32 v186, v122, v166, 4
	v_mul_lo_u16_sdwa v122, v171, s11 dst_sel:DWORD dst_unused:UNUSED_PAD src0_sel:BYTE_0 src1_sel:DWORD
	v_fmac_f64_e32 v[116:117], s[16:17], v[92:93]
	v_lshrrev_b16_e32 v160, 12, v122
	v_fmac_f64_e32 v[116:117], s[14:15], v[84:85]
	ds_write_b128 v186, v[16:19]
	ds_write_b128 v186, v[12:15] offset:48
	ds_write_b128 v186, v[8:11] offset:96
	;; [unrolled: 1-line block ×9, first 2 shown]
	v_mul_u32_u24_e32 v8, 30, v167
	v_mul_lo_u16_e32 v122, 30, v160
	v_add_f64 v[50:51], v[70:71], v[146:147]
	v_add_f64 v[70:71], v[70:71], -v[146:147]
	v_mul_f64 v[142:143], v[116:117], s[8:9]
	v_mul_f64 v[146:147], v[106:107], s[20:21]
	;; [unrolled: 1-line block ×3, first 2 shown]
	v_add_lshl_u32 v187, v8, v169, 4
	v_sub_u16_e32 v122, v171, v122
	v_fmac_f64_e32 v[142:143], s[14:15], v[114:115]
	v_fmac_f64_e32 v[146:147], s[6:7], v[108:109]
	;; [unrolled: 1-line block ×3, first 2 shown]
	ds_write_b128 v187, v[56:59]
	ds_write_b128 v187, v[52:55] offset:48
	ds_write_b128 v187, v[48:51] offset:96
	;; [unrolled: 1-line block ×9, first 2 shown]
	v_mad_legacy_u16 v4, v168, 30, v170
	v_and_b32_e32 v161, 0xff, v122
	v_add_f64 v[92:93], v[124:125], v[104:105]
	v_add_f64 v[88:89], v[130:131], v[140:141]
	;; [unrolled: 1-line block ×7, first 2 shown]
	v_add_f64 v[112:113], v[124:125], -v[104:105]
	v_add_f64 v[108:109], v[130:131], -v[140:141]
	;; [unrolled: 1-line block ×7, first 2 shown]
	v_lshlrev_b32_e32 v188, 4, v4
	v_mad_u64_u32 v[122:123], s[30:31], v161, s29, v[120:121]
	ds_write_b128 v188, v[92:95]
	ds_write_b128 v188, v[88:91] offset:48
	ds_write_b128 v188, v[84:87] offset:96
	;; [unrolled: 1-line block ×9, first 2 shown]
	s_waitcnt lgkmcnt(0)
	s_barrier
	ds_read_b128 v[40:43], v185
	ds_read_b128 v[116:119], v185 offset:4320
	ds_read_b128 v[112:115], v185 offset:8640
	;; [unrolled: 1-line block ×29, first 2 shown]
	global_load_dwordx4 v[132:135], v[122:123], off offset:480
	global_load_dwordx4 v[128:131], v[122:123], off offset:464
	;; [unrolled: 1-line block ×4, first 2 shown]
	s_waitcnt vmcnt(3) lgkmcnt(14)
	v_mul_f64 v[146:147], v[104:105], v[134:135]
	v_accvgpr_write_b32 a255, v135
	s_waitcnt vmcnt(1)
	v_mul_f64 v[144:145], v[112:113], v[138:139]
	s_waitcnt vmcnt(0)
	v_mul_f64 v[124:125], v[118:119], v[142:143]
	v_fma_f64 v[124:125], v[116:117], v[140:141], -v[124:125]
	v_mul_f64 v[126:127], v[116:117], v[142:143]
	v_mul_f64 v[116:117], v[114:115], v[138:139]
	v_fma_f64 v[148:149], v[112:113], v[136:137], -v[116:117]
	v_fmac_f64_e32 v[144:145], v[114:115], v[136:137]
	v_pk_mov_b32 v[114:115], v[128:129], v[128:129] op_sel:[0,1]
	v_pk_mov_b32 v[116:117], v[130:131], v[130:131] op_sel:[0,1]
	v_mul_f64 v[112:113], v[110:111], v[116:117]
	v_fma_f64 v[130:131], v[108:109], v[114:115], -v[112:113]
	v_mul_f64 v[128:129], v[108:109], v[116:117]
	v_accvgpr_write_b32 a251, v117
	v_mul_f64 v[108:109], v[106:107], v[134:135]
	v_fmac_f64_e32 v[128:129], v[110:111], v[114:115]
	v_accvgpr_write_b32 a250, v116
	v_accvgpr_write_b32 a249, v115
	;; [unrolled: 1-line block ×3, first 2 shown]
	v_fma_f64 v[150:151], v[104:105], v[132:133], -v[108:109]
	v_fmac_f64_e32 v[146:147], v[106:107], v[132:133]
	v_accvgpr_write_b32 a254, v134
	v_accvgpr_write_b32 a253, v133
	;; [unrolled: 1-line block ×3, first 2 shown]
	global_load_dwordx4 v[106:109], v[122:123], off offset:544
	global_load_dwordx4 v[110:113], v[122:123], off offset:528
	global_load_dwordx4 v[114:117], v[122:123], off offset:512
	global_load_dwordx4 v[132:135], v[122:123], off offset:496
	v_accvgpr_write_b32 a247, v139
	v_accvgpr_write_b32 a246, v138
	;; [unrolled: 1-line block ×5, first 2 shown]
	v_fmac_f64_e32 v[126:127], v[118:119], v[140:141]
	v_accvgpr_write_b32 a242, v142
	v_accvgpr_write_b32 a241, v141
	;; [unrolled: 1-line block ×3, first 2 shown]
	s_waitcnt vmcnt(3)
	v_mul_f64 v[154:155], v[88:89], v[108:109]
	v_fmac_f64_e32 v[154:155], v[90:91], v[106:107]
	s_waitcnt vmcnt(1)
	v_mul_f64 v[152:153], v[96:97], v[116:117]
	s_waitcnt vmcnt(0)
	v_mul_f64 v[104:105], v[102:103], v[134:135]
	v_pk_mov_b32 v[136:137], v[134:135], v[134:135] op_sel:[0,1]
	v_fma_f64 v[138:139], v[100:101], v[132:133], -v[104:105]
	v_pk_mov_b32 v[134:135], v[132:133], v[132:133] op_sel:[0,1]
	v_mul_f64 v[132:133], v[100:101], v[136:137]
	v_mul_f64 v[100:101], v[98:99], v[116:117]
	v_accvgpr_write_b32 a120, v134
	v_fma_f64 v[156:157], v[96:97], v[114:115], -v[100:101]
	v_mul_f64 v[96:97], v[94:95], v[112:113]
	v_fmac_f64_e32 v[132:133], v[102:103], v[134:135]
	v_accvgpr_write_b32 a121, v135
	v_accvgpr_write_b32 a122, v136
	;; [unrolled: 1-line block ×3, first 2 shown]
	v_fma_f64 v[140:141], v[92:93], v[110:111], -v[96:97]
	v_mul_f64 v[134:135], v[92:93], v[112:113]
	v_mul_f64 v[92:93], v[90:91], v[108:109]
	v_fma_f64 v[158:159], v[88:89], v[106:107], -v[92:93]
	global_load_dwordx4 v[90:93], v[122:123], off offset:560
	v_fmac_f64_e32 v[152:153], v[98:99], v[114:115]
	v_fmac_f64_e32 v[134:135], v[94:95], v[110:111]
	v_accvgpr_write_b32 a82, v106
	v_accvgpr_write_b32 a83, v107
	;; [unrolled: 1-line block ×12, first 2 shown]
	s_waitcnt vmcnt(0)
	v_mul_f64 v[88:89], v[86:87], v[92:93]
	v_fma_f64 v[142:143], v[84:85], v[90:91], -v[88:89]
	v_mul_f64 v[136:137], v[84:85], v[92:93]
	v_mul_lo_u16_sdwa v84, v162, s11 dst_sel:DWORD dst_unused:UNUSED_PAD src0_sel:BYTE_0 src1_sel:DWORD
	v_lshrrev_b16_e32 v166, 12, v84
	v_mul_lo_u16_e32 v84, 30, v166
	v_sub_u16_e32 v84, v162, v84
	v_and_b32_e32 v168, 0xff, v84
	v_accvgpr_write_b32 a95, v93
	v_mad_u64_u32 v[84:85], s[30:31], v168, s29, v[120:121]
	v_fmac_f64_e32 v[136:137], v[86:87], v[90:91]
	v_accvgpr_write_b32 a94, v92
	v_accvgpr_write_b32 a93, v91
	;; [unrolled: 1-line block ×3, first 2 shown]
	global_load_dwordx4 v[88:91], v[84:85], off offset:480
	global_load_dwordx4 v[92:95], v[84:85], off offset:464
	;; [unrolled: 1-line block ×4, first 2 shown]
	s_mov_b32 s11, 0x8889
	s_movk_i32 s29, 0xffe2
	s_waitcnt vmcnt(3)
	v_accvgpr_write_b32 a111, v91
	s_waitcnt vmcnt(2)
	v_accvgpr_write_b32 a86, v92
	;; [unrolled: 2-line block ×3, first 2 shown]
	s_waitcnt vmcnt(0)
	v_mul_f64 v[86:87], v[82:83], v[202:203]
	v_fma_f64 v[120:121], v[80:81], v[200:201], -v[86:87]
	v_mul_f64 v[80:81], v[80:81], v[202:203]
	v_fmac_f64_e32 v[80:81], v[82:83], v[200:201]
	v_mul_f64 v[82:83], v[78:79], v[98:99]
	v_fma_f64 v[122:123], v[76:77], v[96:97], -v[82:83]
	v_mul_f64 v[82:83], v[76:77], v[98:99]
	v_mul_f64 v[76:77], v[74:75], v[94:95]
	v_fma_f64 v[76:77], v[72:73], v[92:93], -v[76:77]
	v_mul_f64 v[72:73], v[72:73], v[94:95]
	v_fmac_f64_e32 v[72:73], v[74:75], v[92:93]
	v_mul_f64 v[74:75], v[70:71], v[90:91]
	v_fmac_f64_e32 v[82:83], v[78:79], v[96:97]
	v_fma_f64 v[78:79], v[68:69], v[88:89], -v[74:75]
	v_mul_f64 v[74:75], v[68:69], v[90:91]
	v_accvgpr_write_b32 a73, v97
	v_accvgpr_write_b32 a74, v98
	;; [unrolled: 1-line block ×6, first 2 shown]
	v_fmac_f64_e32 v[74:75], v[70:71], v[88:89]
	v_accvgpr_write_b32 a110, v90
	v_accvgpr_write_b32 a109, v89
	v_accvgpr_write_b32 a108, v88
	global_load_dwordx4 v[86:89], v[84:85], off offset:544
	global_load_dwordx4 v[90:93], v[84:85], off offset:528
	;; [unrolled: 1-line block ×4, first 2 shown]
	s_waitcnt vmcnt(3)
	v_accvgpr_write_b32 a155, v89
	v_accvgpr_write_b32 a154, v88
	;; [unrolled: 1-line block ×3, first 2 shown]
	s_waitcnt vmcnt(0)
	v_mul_f64 v[68:69], v[66:67], v[100:101]
	v_fma_f64 v[68:69], v[64:65], v[98:99], -v[68:69]
	v_mul_f64 v[64:65], v[64:65], v[100:101]
	v_fmac_f64_e32 v[64:65], v[66:67], v[98:99]
	s_waitcnt lgkmcnt(13)
	v_mul_f64 v[66:67], v[62:63], v[96:97]
	v_fma_f64 v[70:71], v[60:61], v[94:95], -v[66:67]
	v_mul_f64 v[66:67], v[60:61], v[96:97]
	s_waitcnt lgkmcnt(12)
	v_mul_f64 v[60:61], v[58:59], v[92:93]
	v_fma_f64 v[60:61], v[56:57], v[90:91], -v[60:61]
	v_mul_f64 v[56:57], v[56:57], v[92:93]
	v_fmac_f64_e32 v[56:57], v[58:59], v[90:91]
	s_waitcnt lgkmcnt(11)
	v_mul_f64 v[58:59], v[54:55], v[88:89]
	v_fmac_f64_e32 v[66:67], v[62:63], v[94:95]
	v_fma_f64 v[62:63], v[52:53], v[86:87], -v[58:59]
	v_mul_f64 v[58:59], v[52:53], v[88:89]
	v_fmac_f64_e32 v[58:59], v[54:55], v[86:87]
	v_accvgpr_write_b32 a152, v86
	global_load_dwordx4 v[84:87], v[84:85], off offset:560
	v_accvgpr_write_b32 a127, v97
	v_accvgpr_write_b32 a139, v93
	;; [unrolled: 1-line block ×12, first 2 shown]
	s_waitcnt vmcnt(0) lgkmcnt(10)
	v_mul_f64 v[52:53], v[50:51], v[86:87]
	v_fma_f64 v[52:53], v[48:49], v[84:85], -v[52:53]
	v_mul_f64 v[48:49], v[48:49], v[86:87]
	v_fmac_f64_e32 v[48:49], v[50:51], v[84:85]
	v_mul_u32_u24_sdwa v50, v163, s11 dst_sel:DWORD dst_unused:UNUSED_PAD src0_sel:WORD_0 src1_sel:DWORD
	v_lshrrev_b32_e32 v165, 20, v50
	v_mul_lo_u16_e32 v50, 30, v165
	v_sub_u16_e32 v167, v163, v50
	v_mul_lo_u16_e32 v50, 0x90, v167
	v_add_co_u32_e32 v50, vcc, s10, v50
	v_accvgpr_write_b32 a163, v87
	v_addc_co_u32_e32 v51, vcc, 0, v176, vcc
	v_accvgpr_write_b32 a162, v86
	v_accvgpr_write_b32 a161, v85
	;; [unrolled: 1-line block ×3, first 2 shown]
	global_load_dwordx4 v[86:89], v[50:51], off offset:480
	global_load_dwordx4 v[90:93], v[50:51], off offset:464
	;; [unrolled: 1-line block ×4, first 2 shown]
	s_movk_i32 s11, 0x12c
	s_waitcnt vmcnt(3)
	v_accvgpr_write_b32 a143, v89
	v_accvgpr_write_b32 a142, v88
	;; [unrolled: 1-line block ×3, first 2 shown]
	s_waitcnt vmcnt(0) lgkmcnt(8)
	v_mul_f64 v[54:55], v[46:47], v[106:107]
	v_fma_f64 v[98:99], v[44:45], v[104:105], -v[54:55]
	v_mul_f64 v[102:103], v[44:45], v[106:107]
	s_waitcnt lgkmcnt(7)
	v_mul_f64 v[44:45], v[38:39], v[96:97]
	v_fmac_f64_e32 v[102:103], v[46:47], v[104:105]
	v_fma_f64 v[112:113], v[36:37], v[94:95], -v[44:45]
	v_pk_mov_b32 v[44:45], v[90:91], v[90:91] op_sel:[0,1]
	v_accvgpr_write_b32 a104, v104
	v_pk_mov_b32 v[46:47], v[92:93], v[92:93] op_sel:[0,1]
	v_accvgpr_write_b32 a105, v105
	v_accvgpr_write_b32 a106, v106
	;; [unrolled: 1-line block ×3, first 2 shown]
	v_mul_f64 v[104:105], v[36:37], v[96:97]
	s_waitcnt lgkmcnt(6)
	v_mul_f64 v[36:37], v[34:35], v[46:47]
	v_fma_f64 v[92:93], v[32:33], v[44:45], -v[36:37]
	v_mul_f64 v[84:85], v[32:33], v[46:47]
	v_accvgpr_write_b32 a135, v47
	s_waitcnt lgkmcnt(5)
	v_mul_f64 v[32:33], v[30:31], v[88:89]
	v_mul_f64 v[106:107], v[28:29], v[88:89]
	v_fmac_f64_e32 v[84:85], v[34:35], v[44:45]
	v_accvgpr_write_b32 a134, v46
	v_accvgpr_write_b32 a133, v45
	;; [unrolled: 1-line block ×3, first 2 shown]
	v_fma_f64 v[114:115], v[28:29], v[86:87], -v[32:33]
	v_fmac_f64_e32 v[106:107], v[30:31], v[86:87]
	v_accvgpr_write_b32 a140, v86
	global_load_dwordx4 v[30:33], v[50:51], off offset:544
	global_load_dwordx4 v[34:37], v[50:51], off offset:528
	;; [unrolled: 1-line block ×4, first 2 shown]
	v_accvgpr_write_b32 a119, v97
	v_fmac_f64_e32 v[104:105], v[38:39], v[94:95]
	v_accvgpr_write_b32 a118, v96
	v_accvgpr_write_b32 a117, v95
	v_accvgpr_write_b32 a116, v94
	s_waitcnt vmcnt(3) lgkmcnt(1)
	v_mul_f64 v[110:111], v[12:13], v[32:33]
	v_fmac_f64_e32 v[110:111], v[14:15], v[30:31]
	s_waitcnt vmcnt(1)
	v_mul_f64 v[108:109], v[20:21], v[46:47]
	s_waitcnt vmcnt(0)
	v_mul_f64 v[28:29], v[26:27], v[90:91]
	v_fma_f64 v[94:95], v[24:25], v[88:89], -v[28:29]
	v_mul_f64 v[86:87], v[24:25], v[90:91]
	v_mul_f64 v[24:25], v[22:23], v[46:47]
	v_accvgpr_write_b32 a131, v91
	v_fma_f64 v[116:117], v[20:21], v[44:45], -v[24:25]
	v_mul_f64 v[20:21], v[18:19], v[36:37]
	v_fmac_f64_e32 v[86:87], v[26:27], v[88:89]
	v_accvgpr_write_b32 a130, v90
	v_accvgpr_write_b32 a129, v89
	;; [unrolled: 1-line block ×3, first 2 shown]
	v_fma_f64 v[96:97], v[16:17], v[34:35], -v[20:21]
	v_mul_f64 v[88:89], v[16:17], v[36:37]
	v_mul_f64 v[16:17], v[14:15], v[32:33]
	v_fma_f64 v[118:119], v[12:13], v[30:31], -v[16:17]
	global_load_dwordx4 v[14:17], v[50:51], off offset:560
	v_accvgpr_write_b32 a159, v33
	v_accvgpr_write_b32 a158, v32
	;; [unrolled: 1-line block ×5, first 2 shown]
	v_fmac_f64_e32 v[88:89], v[18:19], v[34:35]
	v_accvgpr_write_b32 a150, v36
	v_accvgpr_write_b32 a149, v35
	;; [unrolled: 1-line block ×7, first 2 shown]
	v_fmac_f64_e32 v[108:109], v[22:23], v[44:45]
	v_add_f64 v[18:19], v[136:137], -v[134:135]
	s_waitcnt lgkmcnt(0)
	s_barrier
	s_waitcnt vmcnt(0)
	v_mul_f64 v[12:13], v[10:11], v[16:17]
	v_fma_f64 v[100:101], v[8:9], v[14:15], -v[12:13]
	v_mul_f64 v[90:91], v[8:9], v[16:17]
	v_add_f64 v[8:9], v[40:41], v[148:149]
	v_add_f64 v[8:9], v[8:9], v[150:151]
	;; [unrolled: 1-line block ×5, first 2 shown]
	v_accvgpr_write_b32 a167, v17
	v_fma_f64 v[30:31], -0.5, v[8:9], v[40:41]
	v_add_f64 v[8:9], v[144:145], -v[154:155]
	v_fmac_f64_e32 v[90:91], v[10:11], v[14:15]
	v_accvgpr_write_b32 a166, v16
	v_accvgpr_write_b32 a165, v15
	v_accvgpr_write_b32 a164, v14
	v_fma_f64 v[32:33], s[8:9], v[8:9], v[30:31]
	v_add_f64 v[10:11], v[146:147], -v[152:153]
	v_add_f64 v[12:13], v[148:149], -v[150:151]
	v_add_f64 v[14:15], v[158:159], -v[156:157]
	v_fmac_f64_e32 v[30:31], s[18:19], v[8:9]
	v_fmac_f64_e32 v[32:33], s[6:7], v[10:11]
	v_add_f64 v[12:13], v[12:13], v[14:15]
	v_fmac_f64_e32 v[30:31], s[16:17], v[10:11]
	v_fmac_f64_e32 v[32:33], s[14:15], v[12:13]
	v_fmac_f64_e32 v[30:31], s[14:15], v[12:13]
	v_add_f64 v[12:13], v[148:149], v[158:159]
	v_fmac_f64_e32 v[40:41], -0.5, v[12:13]
	v_fma_f64 v[38:39], s[18:19], v[10:11], v[40:41]
	v_fmac_f64_e32 v[40:41], s[8:9], v[10:11]
	v_fmac_f64_e32 v[38:39], s[6:7], v[8:9]
	v_fmac_f64_e32 v[40:41], s[16:17], v[8:9]
	v_add_f64 v[8:9], v[42:43], v[144:145]
	v_add_f64 v[8:9], v[8:9], v[146:147]
	v_add_f64 v[8:9], v[8:9], v[152:153]
	v_add_f64 v[12:13], v[150:151], -v[148:149]
	v_add_f64 v[14:15], v[156:157], -v[158:159]
	v_add_f64 v[34:35], v[8:9], v[154:155]
	v_add_f64 v[8:9], v[146:147], v[152:153]
	v_add_f64 v[12:13], v[12:13], v[14:15]
	v_fma_f64 v[50:51], -0.5, v[8:9], v[42:43]
	v_add_f64 v[8:9], v[148:149], -v[158:159]
	v_fmac_f64_e32 v[38:39], s[14:15], v[12:13]
	v_fmac_f64_e32 v[40:41], s[14:15], v[12:13]
	v_fma_f64 v[46:47], s[18:19], v[8:9], v[50:51]
	v_add_f64 v[10:11], v[150:151], -v[156:157]
	v_add_f64 v[12:13], v[144:145], -v[146:147]
	v_add_f64 v[14:15], v[154:155], -v[152:153]
	v_fmac_f64_e32 v[50:51], s[8:9], v[8:9]
	v_fmac_f64_e32 v[46:47], s[16:17], v[10:11]
	v_add_f64 v[12:13], v[12:13], v[14:15]
	v_fmac_f64_e32 v[50:51], s[6:7], v[10:11]
	v_fmac_f64_e32 v[46:47], s[14:15], v[12:13]
	v_fmac_f64_e32 v[50:51], s[14:15], v[12:13]
	v_add_f64 v[12:13], v[144:145], v[154:155]
	v_fmac_f64_e32 v[42:43], -0.5, v[12:13]
	v_fma_f64 v[54:55], s[8:9], v[10:11], v[42:43]
	v_fmac_f64_e32 v[42:43], s[18:19], v[10:11]
	v_fmac_f64_e32 v[54:55], s[16:17], v[8:9]
	v_fmac_f64_e32 v[42:43], s[6:7], v[8:9]
	v_add_f64 v[8:9], v[124:125], v[130:131]
	v_add_f64 v[8:9], v[8:9], v[138:139]
	v_add_f64 v[8:9], v[8:9], v[140:141]
	v_add_f64 v[12:13], v[146:147], -v[144:145]
	v_add_f64 v[14:15], v[152:153], -v[154:155]
	v_add_f64 v[36:37], v[8:9], v[142:143]
	v_add_f64 v[8:9], v[138:139], v[140:141]
	v_add_f64 v[12:13], v[12:13], v[14:15]
	v_fma_f64 v[22:23], -0.5, v[8:9], v[124:125]
	v_add_f64 v[8:9], v[128:129], -v[136:137]
	v_fmac_f64_e32 v[54:55], s[14:15], v[12:13]
	v_fmac_f64_e32 v[42:43], s[14:15], v[12:13]
	;; [unrolled: 28-line block ×3, first 2 shown]
	v_fma_f64 v[14:15], s[18:19], v[8:9], v[44:45]
	v_add_f64 v[12:13], v[138:139], -v[140:141]
	v_add_f64 v[16:17], v[128:129], -v[132:133]
	v_fmac_f64_e32 v[44:45], s[8:9], v[8:9]
	v_fmac_f64_e32 v[14:15], s[16:17], v[12:13]
	v_add_f64 v[16:17], v[16:17], v[18:19]
	v_fmac_f64_e32 v[44:45], s[6:7], v[12:13]
	v_fmac_f64_e32 v[14:15], s[14:15], v[16:17]
	;; [unrolled: 1-line block ×3, first 2 shown]
	v_add_f64 v[16:17], v[128:129], v[136:137]
	v_fmac_f64_e32 v[126:127], -0.5, v[16:17]
	v_fma_f64 v[130:131], s[8:9], v[12:13], v[126:127]
	v_add_f64 v[16:17], v[132:133], -v[128:129]
	v_add_f64 v[18:19], v[134:135], -v[136:137]
	v_fmac_f64_e32 v[126:127], s[18:19], v[12:13]
	v_add_f64 v[16:17], v[16:17], v[18:19]
	v_fmac_f64_e32 v[126:127], s[6:7], v[8:9]
	v_fmac_f64_e32 v[130:131], s[16:17], v[8:9]
	;; [unrolled: 1-line block ×3, first 2 shown]
	v_mul_f64 v[134:135], v[124:125], s[22:23]
	v_fmac_f64_e32 v[130:131], s[14:15], v[16:17]
	v_fmac_f64_e32 v[134:135], s[8:9], v[126:127]
	v_mul_f64 v[126:127], v[126:127], s[22:23]
	v_mul_f64 v[132:133], v[130:131], s[8:9]
	;; [unrolled: 1-line block ×3, first 2 shown]
	v_fmac_f64_e32 v[126:127], s[18:19], v[124:125]
	v_mul_f64 v[124:125], v[44:45], s[20:21]
	v_fmac_f64_e32 v[132:133], s[14:15], v[26:27]
	v_fmac_f64_e32 v[138:139], s[24:25], v[14:15]
	;; [unrolled: 1-line block ×3, first 2 shown]
	v_add_f64 v[16:17], v[28:29], v[36:37]
	v_mul_f64 v[128:129], v[14:15], s[6:7]
	v_add_f64 v[8:9], v[38:39], v[132:133]
	v_mul_f64 v[136:137], v[22:23], s[20:21]
	v_add_f64 v[18:19], v[34:35], v[144:145]
	v_add_f64 v[14:15], v[46:47], v[138:139]
	v_mul_f64 v[140:141], v[26:27], s[18:19]
	v_add_f64 v[26:27], v[42:43], v[126:127]
	v_add_f64 v[22:23], v[50:51], v[124:125]
	v_add_f64 v[36:37], v[28:29], -v[36:37]
	v_add_f64 v[28:29], v[38:39], -v[132:133]
	;; [unrolled: 1-line block ×6, first 2 shown]
	v_add_f64 v[50:51], v[4:5], v[122:123]
	v_add_f64 v[50:51], v[50:51], v[78:79]
	;; [unrolled: 1-line block ×5, first 2 shown]
	v_fmac_f64_e32 v[128:129], s[24:25], v[10:11]
	v_fmac_f64_e32 v[136:137], s[6:7], v[44:45]
	v_fmac_f64_e32 v[140:141], s[14:15], v[130:131]
	v_fma_f64 v[126:127], -0.5, v[50:51], v[4:5]
	v_add_f64 v[50:51], v[82:83], -v[58:59]
	v_add_f64 v[12:13], v[32:33], v[128:129]
	v_add_f64 v[24:25], v[40:41], v[134:135]
	;; [unrolled: 1-line block ×4, first 2 shown]
	v_add_f64 v[32:33], v[32:33], -v[128:129]
	v_add_f64 v[44:45], v[40:41], -v[134:135]
	;; [unrolled: 1-line block ×4, first 2 shown]
	v_fma_f64 v[128:129], s[8:9], v[50:51], v[126:127]
	v_add_f64 v[54:55], v[74:75], -v[66:67]
	v_add_f64 v[130:131], v[122:123], -v[78:79]
	;; [unrolled: 1-line block ×3, first 2 shown]
	v_fmac_f64_e32 v[126:127], s[18:19], v[50:51]
	v_fmac_f64_e32 v[128:129], s[6:7], v[54:55]
	v_add_f64 v[130:131], v[130:131], v[132:133]
	v_fmac_f64_e32 v[126:127], s[16:17], v[54:55]
	v_fmac_f64_e32 v[128:129], s[14:15], v[130:131]
	;; [unrolled: 1-line block ×3, first 2 shown]
	v_add_f64 v[130:131], v[122:123], v[62:63]
	v_fmac_f64_e32 v[4:5], -0.5, v[130:131]
	v_fma_f64 v[134:135], s[18:19], v[54:55], v[4:5]
	v_fmac_f64_e32 v[4:5], s[8:9], v[54:55]
	v_fmac_f64_e32 v[134:135], s[6:7], v[50:51]
	;; [unrolled: 1-line block ×3, first 2 shown]
	v_add_f64 v[50:51], v[6:7], v[82:83]
	v_add_f64 v[130:131], v[78:79], -v[122:123]
	v_add_f64 v[132:133], v[70:71], -v[62:63]
	v_add_f64 v[50:51], v[50:51], v[74:75]
	v_add_f64 v[130:131], v[130:131], v[132:133]
	v_add_f64 v[50:51], v[50:51], v[66:67]
	v_fmac_f64_e32 v[134:135], s[14:15], v[130:131]
	v_fmac_f64_e32 v[4:5], s[14:15], v[130:131]
	v_add_f64 v[130:131], v[50:51], v[58:59]
	v_add_f64 v[50:51], v[74:75], v[66:67]
	v_fma_f64 v[132:133], -0.5, v[50:51], v[6:7]
	v_add_f64 v[50:51], v[122:123], -v[62:63]
	v_fma_f64 v[122:123], s[18:19], v[50:51], v[132:133]
	v_add_f64 v[54:55], v[78:79], -v[70:71]
	v_add_f64 v[62:63], v[82:83], -v[74:75]
	;; [unrolled: 1-line block ×3, first 2 shown]
	v_fmac_f64_e32 v[132:133], s[8:9], v[50:51]
	v_fmac_f64_e32 v[122:123], s[16:17], v[54:55]
	v_add_f64 v[62:63], v[62:63], v[70:71]
	v_fmac_f64_e32 v[132:133], s[6:7], v[54:55]
	v_fmac_f64_e32 v[122:123], s[14:15], v[62:63]
	;; [unrolled: 1-line block ×3, first 2 shown]
	v_add_f64 v[62:63], v[82:83], v[58:59]
	v_fmac_f64_e32 v[6:7], -0.5, v[62:63]
	v_fma_f64 v[70:71], s[8:9], v[54:55], v[6:7]
	v_fmac_f64_e32 v[6:7], s[18:19], v[54:55]
	v_fmac_f64_e32 v[70:71], s[16:17], v[50:51]
	;; [unrolled: 1-line block ×3, first 2 shown]
	v_add_f64 v[50:51], v[120:121], v[76:77]
	v_add_f64 v[50:51], v[50:51], v[68:69]
	;; [unrolled: 1-line block ×3, first 2 shown]
	v_add_f64 v[62:63], v[74:75], -v[82:83]
	v_add_f64 v[58:59], v[66:67], -v[58:59]
	v_add_f64 v[74:75], v[50:51], v[52:53]
	v_add_f64 v[50:51], v[68:69], v[60:61]
	;; [unrolled: 1-line block ×3, first 2 shown]
	v_fma_f64 v[62:63], -0.5, v[50:51], v[120:121]
	v_add_f64 v[50:51], v[72:73], -v[48:49]
	v_fmac_f64_e32 v[70:71], s[14:15], v[58:59]
	v_fmac_f64_e32 v[6:7], s[14:15], v[58:59]
	v_fma_f64 v[54:55], s[8:9], v[50:51], v[62:63]
	v_add_f64 v[58:59], v[64:65], -v[56:57]
	v_add_f64 v[66:67], v[76:77], -v[68:69]
	;; [unrolled: 1-line block ×3, first 2 shown]
	v_fmac_f64_e32 v[62:63], s[18:19], v[50:51]
	v_fmac_f64_e32 v[54:55], s[6:7], v[58:59]
	v_add_f64 v[66:67], v[66:67], v[78:79]
	v_fmac_f64_e32 v[62:63], s[16:17], v[58:59]
	v_fmac_f64_e32 v[54:55], s[14:15], v[66:67]
	v_fmac_f64_e32 v[62:63], s[14:15], v[66:67]
	v_add_f64 v[66:67], v[76:77], v[52:53]
	v_fmac_f64_e32 v[120:121], -0.5, v[66:67]
	v_fma_f64 v[66:67], s[18:19], v[58:59], v[120:121]
	v_fmac_f64_e32 v[120:121], s[8:9], v[58:59]
	v_fmac_f64_e32 v[66:67], s[6:7], v[50:51]
	;; [unrolled: 1-line block ×3, first 2 shown]
	v_add_f64 v[50:51], v[80:81], v[72:73]
	v_add_f64 v[78:79], v[68:69], -v[76:77]
	v_add_f64 v[82:83], v[60:61], -v[52:53]
	v_add_f64 v[50:51], v[50:51], v[64:65]
	v_add_f64 v[78:79], v[78:79], v[82:83]
	;; [unrolled: 1-line block ×3, first 2 shown]
	v_fmac_f64_e32 v[66:67], s[14:15], v[78:79]
	v_fmac_f64_e32 v[120:121], s[14:15], v[78:79]
	v_add_f64 v[78:79], v[50:51], v[48:49]
	v_add_f64 v[50:51], v[64:65], v[56:57]
	v_fma_f64 v[82:83], -0.5, v[50:51], v[80:81]
	v_add_f64 v[50:51], v[76:77], -v[52:53]
	v_fma_f64 v[76:77], s[18:19], v[50:51], v[82:83]
	v_add_f64 v[52:53], v[68:69], -v[60:61]
	v_add_f64 v[58:59], v[72:73], -v[64:65]
	;; [unrolled: 1-line block ×3, first 2 shown]
	v_fmac_f64_e32 v[82:83], s[8:9], v[50:51]
	v_fmac_f64_e32 v[76:77], s[16:17], v[52:53]
	v_add_f64 v[58:59], v[58:59], v[60:61]
	v_fmac_f64_e32 v[82:83], s[6:7], v[52:53]
	v_fmac_f64_e32 v[76:77], s[14:15], v[58:59]
	;; [unrolled: 1-line block ×3, first 2 shown]
	v_add_f64 v[58:59], v[72:73], v[48:49]
	v_fmac_f64_e32 v[80:81], -0.5, v[58:59]
	v_fma_f64 v[68:69], s[8:9], v[52:53], v[80:81]
	v_add_f64 v[58:59], v[64:65], -v[72:73]
	v_add_f64 v[48:49], v[56:57], -v[48:49]
	v_fmac_f64_e32 v[80:81], s[18:19], v[52:53]
	v_add_f64 v[48:49], v[58:59], v[48:49]
	v_fmac_f64_e32 v[80:81], s[6:7], v[50:51]
	v_fmac_f64_e32 v[80:81], s[14:15], v[48:49]
	;; [unrolled: 1-line block ×3, first 2 shown]
	v_mul_f64 v[146:147], v[80:81], s[22:23]
	v_fmac_f64_e32 v[68:69], s[14:15], v[48:49]
	v_mul_f64 v[138:139], v[120:121], s[22:23]
	v_fmac_f64_e32 v[146:147], s[18:19], v[120:121]
	v_mul_f64 v[120:121], v[82:83], s[20:21]
	v_mul_f64 v[136:137], v[68:69], s[8:9]
	;; [unrolled: 1-line block ×3, first 2 shown]
	v_fmac_f64_e32 v[120:121], s[16:17], v[62:63]
	v_fmac_f64_e32 v[136:137], s[14:15], v[66:67]
	;; [unrolled: 1-line block ×3, first 2 shown]
	v_mul_f64 v[144:145], v[66:67], s[18:19]
	v_add_f64 v[66:67], v[6:7], v[146:147]
	v_add_f64 v[62:63], v[132:133], v[120:121]
	v_add_f64 v[82:83], v[6:7], -v[146:147]
	v_add_f64 v[6:7], v[132:133], -v[120:121]
	v_add_f64 v[120:121], v[0:1], v[112:113]
	v_mul_f64 v[142:143], v[54:55], s[16:17]
	v_add_f64 v[120:121], v[120:121], v[114:115]
	v_mul_f64 v[72:73], v[76:77], s[6:7]
	v_fmac_f64_e32 v[142:143], s[24:25], v[76:77]
	v_add_f64 v[120:121], v[120:121], v[116:117]
	v_add_f64 v[56:57], v[124:125], v[74:75]
	v_fmac_f64_e32 v[72:73], s[24:25], v[54:55]
	v_fmac_f64_e32 v[138:139], s[8:9], v[80:81]
	v_add_f64 v[54:55], v[122:123], v[142:143]
	v_add_f64 v[76:77], v[124:125], -v[74:75]
	v_add_f64 v[74:75], v[122:123], -v[142:143]
	v_add_f64 v[122:123], v[120:121], v[118:119]
	v_add_f64 v[120:121], v[114:115], v[116:117]
	v_add_f64 v[64:65], v[4:5], v[138:139]
	v_add_f64 v[60:61], v[126:127], v[140:141]
	v_add_f64 v[80:81], v[4:5], -v[138:139]
	v_add_f64 v[4:5], v[126:127], -v[140:141]
	v_fma_f64 v[126:127], -0.5, v[120:121], v[0:1]
	v_add_f64 v[120:121], v[104:105], -v[110:111]
	v_add_f64 v[52:53], v[128:129], v[72:73]
	v_add_f64 v[58:59], v[130:131], v[78:79]
	v_add_f64 v[72:73], v[128:129], -v[72:73]
	v_add_f64 v[78:79], v[130:131], -v[78:79]
	v_fma_f64 v[128:129], s[8:9], v[120:121], v[126:127]
	v_add_f64 v[124:125], v[106:107], -v[108:109]
	v_add_f64 v[130:131], v[112:113], -v[114:115]
	;; [unrolled: 1-line block ×3, first 2 shown]
	v_fmac_f64_e32 v[126:127], s[18:19], v[120:121]
	v_fmac_f64_e32 v[128:129], s[6:7], v[124:125]
	v_add_f64 v[130:131], v[130:131], v[132:133]
	v_fmac_f64_e32 v[126:127], s[16:17], v[124:125]
	v_fmac_f64_e32 v[128:129], s[14:15], v[130:131]
	;; [unrolled: 1-line block ×3, first 2 shown]
	v_add_f64 v[130:131], v[112:113], v[118:119]
	v_fmac_f64_e32 v[0:1], -0.5, v[130:131]
	v_fma_f64 v[132:133], s[18:19], v[124:125], v[0:1]
	v_fmac_f64_e32 v[0:1], s[8:9], v[124:125]
	v_fmac_f64_e32 v[132:133], s[6:7], v[120:121]
	;; [unrolled: 1-line block ×3, first 2 shown]
	v_add_f64 v[120:121], v[2:3], v[104:105]
	v_add_f64 v[48:49], v[134:135], v[136:137]
	v_fmac_f64_e32 v[144:145], s[14:15], v[68:69]
	v_add_f64 v[68:69], v[134:135], -v[136:137]
	v_add_f64 v[130:131], v[114:115], -v[112:113]
	;; [unrolled: 1-line block ×3, first 2 shown]
	v_add_f64 v[120:121], v[120:121], v[106:107]
	v_add_f64 v[130:131], v[130:131], v[134:135]
	;; [unrolled: 1-line block ×3, first 2 shown]
	v_fmac_f64_e32 v[132:133], s[14:15], v[130:131]
	v_fmac_f64_e32 v[0:1], s[14:15], v[130:131]
	v_add_f64 v[130:131], v[120:121], v[110:111]
	v_add_f64 v[120:121], v[106:107], v[108:109]
	v_fma_f64 v[120:121], -0.5, v[120:121], v[2:3]
	v_add_f64 v[112:113], v[112:113], -v[118:119]
	v_fma_f64 v[118:119], s[18:19], v[112:113], v[120:121]
	v_add_f64 v[114:115], v[114:115], -v[116:117]
	v_add_f64 v[116:117], v[104:105], -v[106:107]
	;; [unrolled: 1-line block ×3, first 2 shown]
	v_fmac_f64_e32 v[120:121], s[8:9], v[112:113]
	v_fmac_f64_e32 v[118:119], s[16:17], v[114:115]
	v_add_f64 v[116:117], v[116:117], v[124:125]
	v_fmac_f64_e32 v[120:121], s[6:7], v[114:115]
	v_fmac_f64_e32 v[118:119], s[14:15], v[116:117]
	;; [unrolled: 1-line block ×3, first 2 shown]
	v_add_f64 v[116:117], v[104:105], v[110:111]
	v_add_f64 v[104:105], v[106:107], -v[104:105]
	v_add_f64 v[106:107], v[108:109], -v[110:111]
	v_fmac_f64_e32 v[2:3], -0.5, v[116:117]
	v_add_f64 v[104:105], v[104:105], v[106:107]
	v_add_f64 v[106:107], v[94:95], v[96:97]
	v_fma_f64 v[134:135], s[8:9], v[114:115], v[2:3]
	v_fmac_f64_e32 v[2:3], s[18:19], v[114:115]
	v_fma_f64 v[106:107], -0.5, v[106:107], v[98:99]
	v_add_f64 v[108:109], v[84:85], -v[90:91]
	v_fmac_f64_e32 v[134:135], s[16:17], v[112:113]
	v_fmac_f64_e32 v[2:3], s[6:7], v[112:113]
	v_fma_f64 v[110:111], s[8:9], v[108:109], v[106:107]
	v_add_f64 v[112:113], v[86:87], -v[88:89]
	v_add_f64 v[114:115], v[92:93], -v[94:95]
	;; [unrolled: 1-line block ×3, first 2 shown]
	v_fmac_f64_e32 v[106:107], s[18:19], v[108:109]
	v_fmac_f64_e32 v[110:111], s[6:7], v[112:113]
	v_add_f64 v[114:115], v[114:115], v[116:117]
	v_fmac_f64_e32 v[106:107], s[16:17], v[112:113]
	v_fmac_f64_e32 v[110:111], s[14:15], v[114:115]
	;; [unrolled: 1-line block ×3, first 2 shown]
	v_add_f64 v[114:115], v[92:93], v[100:101]
	v_fmac_f64_e32 v[134:135], s[14:15], v[104:105]
	v_fmac_f64_e32 v[2:3], s[14:15], v[104:105]
	v_add_f64 v[104:105], v[98:99], v[92:93]
	v_fmac_f64_e32 v[98:99], -0.5, v[114:115]
	v_fma_f64 v[114:115], s[18:19], v[112:113], v[98:99]
	v_fmac_f64_e32 v[98:99], s[8:9], v[112:113]
	v_fmac_f64_e32 v[114:115], s[6:7], v[108:109]
	;; [unrolled: 1-line block ×3, first 2 shown]
	v_add_f64 v[108:109], v[102:103], v[84:85]
	v_add_f64 v[108:109], v[108:109], v[86:87]
	;; [unrolled: 1-line block ×7, first 2 shown]
	v_add_f64 v[116:117], v[94:95], -v[92:93]
	v_fma_f64 v[108:109], -0.5, v[108:109], v[102:103]
	v_add_f64 v[92:93], v[92:93], -v[100:101]
	v_add_f64 v[104:105], v[104:105], v[100:101]
	v_add_f64 v[124:125], v[96:97], -v[100:101]
	v_fma_f64 v[112:113], s[18:19], v[92:93], v[108:109]
	v_add_f64 v[94:95], v[94:95], -v[96:97]
	v_add_f64 v[96:97], v[84:85], -v[86:87]
	;; [unrolled: 1-line block ×3, first 2 shown]
	v_fmac_f64_e32 v[108:109], s[8:9], v[92:93]
	v_fmac_f64_e32 v[112:113], s[16:17], v[94:95]
	v_add_f64 v[96:97], v[96:97], v[100:101]
	v_fmac_f64_e32 v[108:109], s[6:7], v[94:95]
	v_fmac_f64_e32 v[112:113], s[14:15], v[96:97]
	;; [unrolled: 1-line block ×3, first 2 shown]
	v_add_f64 v[96:97], v[84:85], v[90:91]
	v_add_f64 v[116:117], v[116:117], v[124:125]
	v_fmac_f64_e32 v[102:103], -0.5, v[96:97]
	v_fmac_f64_e32 v[114:115], s[14:15], v[116:117]
	v_fmac_f64_e32 v[98:99], s[14:15], v[116:117]
	v_fma_f64 v[116:117], s[8:9], v[94:95], v[102:103]
	v_add_f64 v[84:85], v[86:87], -v[84:85]
	v_add_f64 v[86:87], v[88:89], -v[90:91]
	v_fmac_f64_e32 v[102:103], s[18:19], v[94:95]
	v_add_f64 v[84:85], v[84:85], v[86:87]
	v_fmac_f64_e32 v[102:103], s[6:7], v[92:93]
	v_fmac_f64_e32 v[102:103], s[14:15], v[84:85]
	v_mul_f64 v[138:139], v[112:113], s[6:7]
	v_fmac_f64_e32 v[138:139], s[24:25], v[110:111]
	v_mul_f64 v[110:111], v[110:111], s[16:17]
	v_mul_f64 v[148:149], v[102:103], s[22:23]
	;; [unrolled: 1-line block ×4, first 2 shown]
	v_fmac_f64_e32 v[110:111], s[24:25], v[112:113]
	v_fmac_f64_e32 v[148:149], s[18:19], v[98:99]
	;; [unrolled: 1-line block ×4, first 2 shown]
	v_add_f64 v[90:91], v[118:119], v[110:111]
	v_add_f64 v[102:103], v[2:3], v[148:149]
	;; [unrolled: 1-line block ×3, first 2 shown]
	v_add_f64 v[110:111], v[118:119], -v[110:111]
	v_add_f64 v[118:119], v[2:3], -v[148:149]
	v_add_f64 v[2:3], v[120:121], -v[124:125]
	v_mul_u32_u24_e32 v120, 0x12c, v160
	v_add_lshl_u32 v182, v120, v161, 4
	ds_write_b128 v182, v[16:19]
	ds_write_b128 v182, v[12:15] offset:480
	ds_write_b128 v182, v[8:11] offset:960
	;; [unrolled: 1-line block ×9, first 2 shown]
	v_mul_u32_u24_e32 v8, 0x12c, v166
	v_lshlrev_b32_e32 v120, 5, v171
	v_add_lshl_u32 v183, v8, v168, 4
	v_add_co_u32_e32 v190, vcc, s10, v120
	v_add_f64 v[50:51], v[70:71], v[144:145]
	v_add_f64 v[70:71], v[70:71], -v[144:145]
	v_fmac_f64_e32 v[116:117], s[16:17], v[92:93]
	ds_write_b128 v183, v[56:59]
	ds_write_b128 v183, v[52:55] offset:480
	ds_write_b128 v183, v[48:51] offset:960
	;; [unrolled: 1-line block ×9, first 2 shown]
	v_mad_legacy_u16 v4, v165, s11, v167
	v_addc_co_u32_e32 v191, vcc, 0, v176, vcc
	s_movk_i32 s11, 0x1290
	v_fmac_f64_e32 v[116:117], s[14:15], v[84:85]
	v_add_co_u32_e32 v120, vcc, s11, v190
	v_mul_f64 v[140:141], v[116:117], s[8:9]
	v_mul_f64 v[144:145], v[106:107], s[20:21]
	;; [unrolled: 1-line block ×3, first 2 shown]
	v_addc_co_u32_e32 v121, vcc, 0, v191, vcc
	v_fmac_f64_e32 v[140:141], s[14:15], v[114:115]
	v_fmac_f64_e32 v[144:145], s[6:7], v[108:109]
	;; [unrolled: 1-line block ×3, first 2 shown]
	v_add_co_u32_e32 v152, vcc, s27, v190
	v_add_f64 v[92:93], v[122:123], v[104:105]
	v_add_f64 v[88:89], v[128:129], v[138:139]
	v_add_f64 v[84:85], v[132:133], v[140:141]
	v_add_f64 v[100:101], v[0:1], v[142:143]
	v_add_f64 v[96:97], v[126:127], v[144:145]
	v_add_f64 v[94:95], v[130:131], v[136:137]
	v_add_f64 v[86:87], v[134:135], v[146:147]
	v_add_f64 v[112:113], v[122:123], -v[104:105]
	v_add_f64 v[108:109], v[128:129], -v[138:139]
	;; [unrolled: 1-line block ×7, first 2 shown]
	v_lshlrev_b32_e32 v184, 4, v4
	v_addc_co_u32_e32 v153, vcc, 0, v191, vcc
	ds_write_b128 v184, v[92:95]
	ds_write_b128 v184, v[88:91] offset:480
	ds_write_b128 v184, v[84:87] offset:960
	;; [unrolled: 1-line block ×9, first 2 shown]
	s_waitcnt lgkmcnt(0)
	s_barrier
	ds_read_b128 v[36:39], v185
	ds_read_b128 v[116:119], v185 offset:14400
	ds_read_b128 v[112:115], v185 offset:28800
	;; [unrolled: 1-line block ×29, first 2 shown]
	global_load_dwordx4 v[130:133], v[152:153], off offset:656
	global_load_dwordx4 v[126:129], v[120:121], off offset:16
	s_waitcnt vmcnt(1) lgkmcnt(14)
	v_mul_f64 v[120:121], v[118:119], v[132:133]
	v_mul_f64 v[124:125], v[116:117], v[132:133]
	v_fma_f64 v[122:123], v[116:117], v[130:131], -v[120:121]
	v_fmac_f64_e32 v[124:125], v[118:119], v[130:131]
	s_waitcnt vmcnt(0)
	v_pk_mov_b32 v[118:119], v[126:127], v[126:127] op_sel:[0,1]
	v_pk_mov_b32 v[120:121], v[128:129], v[128:129] op_sel:[0,1]
	v_mul_f64 v[116:117], v[114:115], v[120:121]
	v_fma_f64 v[126:127], v[112:113], v[118:119], -v[116:117]
	v_mul_f64 v[112:113], v[112:113], v[120:121]
	v_fmac_f64_e32 v[112:113], v[114:115], v[118:119]
	v_lshlrev_b32_e32 v114, 5, v162
	v_add_co_u32_e32 v192, vcc, s10, v114
	v_addc_co_u32_e32 v193, vcc, 0, v176, vcc
	v_add_co_u32_e32 v114, vcc, s11, v192
	v_addc_co_u32_e32 v115, vcc, 0, v193, vcc
	v_add_co_u32_e32 v116, vcc, s27, v192
	v_accvgpr_write_b32 a68, v130
	v_accvgpr_write_b32 a64, v118
	v_addc_co_u32_e32 v117, vcc, 0, v193, vcc
	v_accvgpr_write_b32 a69, v131
	v_accvgpr_write_b32 a70, v132
	;; [unrolled: 1-line block ×6, first 2 shown]
	global_load_dwordx4 v[132:135], v[116:117], off offset:656
	s_nop 0
	global_load_dwordx4 v[116:119], v[114:115], off offset:16
	s_waitcnt vmcnt(1)
	v_mul_f64 v[114:115], v[110:111], v[134:135]
	v_fma_f64 v[128:129], v[108:109], v[132:133], -v[114:115]
	v_mul_f64 v[130:131], v[108:109], v[134:135]
	v_accvgpr_write_b32 a60, v132
	s_waitcnt vmcnt(0)
	v_mul_f64 v[108:109], v[106:107], v[118:119]
	v_fmac_f64_e32 v[130:131], v[110:111], v[132:133]
	v_accvgpr_write_b32 a61, v133
	v_accvgpr_write_b32 a62, v134
	;; [unrolled: 1-line block ×3, first 2 shown]
	v_fma_f64 v[132:133], v[104:105], v[116:117], -v[108:109]
	v_mul_f64 v[134:135], v[104:105], v[118:119]
	v_lshlrev_b32_e32 v104, 5, v163
	v_add_co_u32_e32 v196, vcc, s10, v104
	v_addc_co_u32_e32 v197, vcc, 0, v176, vcc
	v_add_co_u32_e32 v104, vcc, s11, v196
	v_addc_co_u32_e32 v105, vcc, 0, v197, vcc
	v_fmac_f64_e32 v[134:135], v[106:107], v[116:117]
	v_add_co_u32_e32 v106, vcc, s27, v196
	v_accvgpr_write_b32 a52, v116
	v_addc_co_u32_e32 v107, vcc, 0, v197, vcc
	v_accvgpr_write_b32 a53, v117
	v_accvgpr_write_b32 a54, v118
	v_accvgpr_write_b32 a55, v119
	global_load_dwordx4 v[114:117], v[106:107], off offset:656
	s_nop 0
	global_load_dwordx4 v[106:109], v[104:105], off offset:16
	s_waitcnt vmcnt(1)
	v_mul_f64 v[104:105], v[102:103], v[116:117]
	v_fma_f64 v[136:137], v[100:101], v[114:115], -v[104:105]
	v_mul_f64 v[138:139], v[100:101], v[116:117]
	s_waitcnt vmcnt(0)
	v_mul_f64 v[100:101], v[98:99], v[108:109]
	v_fma_f64 v[140:141], v[96:97], v[106:107], -v[100:101]
	v_mul_f64 v[142:143], v[96:97], v[108:109]
	v_add_co_u32_e32 v96, vcc, s29, v171
	v_addc_co_u32_e64 v97, s[30:31], 0, -1, vcc
	v_cmp_gt_u16_e32 vcc, 30, v171
	v_cndmask_b32_e32 v121, v97, v164, vcc
	v_cndmask_b32_e32 v120, v96, v194, vcc
	v_lshlrev_b64 v[96:97], 5, v[120:121]
	v_fmac_f64_e32 v[142:143], v[98:99], v[106:107]
	v_add_co_u32_e32 v98, vcc, s10, v96
	v_addc_co_u32_e32 v99, vcc, v176, v97, vcc
	v_add_co_u32_e32 v96, vcc, s11, v98
	v_addc_co_u32_e32 v97, vcc, 0, v99, vcc
	;; [unrolled: 2-line block ×3, first 2 shown]
	v_fmac_f64_e32 v[138:139], v[102:103], v[114:115]
	global_load_dwordx4 v[102:105], v[98:99], off offset:656
	s_nop 0
	global_load_dwordx4 v[98:101], v[96:97], off offset:16
	s_movk_i32 s29, 0x1a10
	v_accvgpr_write_b32 a48, v114
	v_accvgpr_write_b32 a49, v115
	;; [unrolled: 1-line block ×8, first 2 shown]
	s_waitcnt vmcnt(1)
	v_mul_f64 v[96:97], v[94:95], v[104:105]
	v_fma_f64 v[144:145], v[92:93], v[102:103], -v[96:97]
	v_mul_f64 v[146:147], v[92:93], v[104:105]
	s_waitcnt vmcnt(0)
	v_mul_f64 v[92:93], v[90:91], v[100:101]
	v_fma_f64 v[148:149], v[88:89], v[98:99], -v[92:93]
	v_mul_f64 v[150:151], v[88:89], v[100:101]
	v_add_co_u32_e32 v88, vcc, s29, v190
	v_fmac_f64_e32 v[146:147], v[94:95], v[102:103]
	v_fmac_f64_e32 v[150:151], v[90:91], v[98:99]
	v_addc_co_u32_e32 v89, vcc, 0, v191, vcc
	global_load_dwordx4 v[94:97], v[152:153], off offset:2576
	global_load_dwordx4 v[90:93], v[88:89], off offset:16
	s_movk_i32 s29, 0x2550
	v_accvgpr_write_b32 a40, v102
	v_accvgpr_write_b32 a41, v103
	;; [unrolled: 1-line block ×8, first 2 shown]
	s_waitcnt vmcnt(1)
	v_mul_f64 v[88:89], v[86:87], v[96:97]
	v_fma_f64 v[152:153], v[84:85], v[94:95], -v[88:89]
	v_mul_f64 v[154:155], v[84:85], v[96:97]
	s_waitcnt vmcnt(0)
	v_mul_f64 v[84:85], v[82:83], v[92:93]
	v_fma_f64 v[156:157], v[80:81], v[90:91], -v[84:85]
	v_mul_f64 v[158:159], v[80:81], v[92:93]
	v_add_co_u32_e32 v80, vcc, s29, v190
	v_addc_co_u32_e32 v81, vcc, 0, v191, vcc
	v_fmac_f64_e32 v[158:159], v[82:83], v[90:91]
	v_add_co_u32_e32 v82, vcc, s28, v190
	v_addc_co_u32_e32 v83, vcc, 0, v191, vcc
	v_fmac_f64_e32 v[154:155], v[86:87], v[94:95]
	global_load_dwordx4 v[86:89], v[82:83], off offset:1360
	s_nop 0
	global_load_dwordx4 v[82:85], v[80:81], off offset:16
	v_accvgpr_write_b32 a32, v94
	v_accvgpr_write_b32 a33, v95
	v_accvgpr_write_b32 a34, v96
	v_accvgpr_write_b32 a35, v97
	v_accvgpr_write_b32 a28, v90
	v_accvgpr_write_b32 a29, v91
	v_accvgpr_write_b32 a30, v92
	v_accvgpr_write_b32 a31, v93
	s_waitcnt vmcnt(1) lgkmcnt(13)
	v_mul_f64 v[80:81], v[78:79], v[88:89]
	v_fma_f64 v[160:161], v[76:77], v[86:87], -v[80:81]
	v_mul_f64 v[162:163], v[76:77], v[88:89]
	s_waitcnt vmcnt(0) lgkmcnt(12)
	v_mul_f64 v[76:77], v[74:75], v[84:85]
	v_fma_f64 v[164:165], v[72:73], v[82:83], -v[76:77]
	v_mul_f64 v[166:167], v[72:73], v[84:85]
	v_lshrrev_b16_e32 v72, 2, v189
	v_mul_u32_u24_e32 v72, 0x6d3b, v72
	v_lshrrev_b32_e32 v121, 21, v72
	v_mul_lo_u16_e32 v72, 0x12c, v121
	v_sub_u16_e32 v198, v189, v72
	v_lshlrev_b16_e32 v72, 5, v198
	v_fmac_f64_e32 v[166:167], v[74:75], v[82:83]
	v_add_co_u32_e32 v74, vcc, s10, v72
	v_addc_co_u32_e32 v75, vcc, 0, v176, vcc
	v_add_co_u32_e32 v72, vcc, s11, v74
	v_addc_co_u32_e32 v73, vcc, 0, v75, vcc
	v_add_co_u32_e32 v74, vcc, s27, v74
	v_addc_co_u32_e32 v75, vcc, 0, v75, vcc
	v_fmac_f64_e32 v[162:163], v[78:79], v[86:87]
	global_load_dwordx4 v[78:81], v[74:75], off offset:656
	s_nop 0
	global_load_dwordx4 v[74:77], v[72:73], off offset:16
	v_accvgpr_write_b32 a24, v86
	v_accvgpr_write_b32 a25, v87
	v_accvgpr_write_b32 a26, v88
	v_accvgpr_write_b32 a27, v89
	v_accvgpr_write_b32 a56, v82
	v_accvgpr_write_b32 a57, v83
	v_accvgpr_write_b32 a58, v84
	v_accvgpr_write_b32 a59, v85
	s_waitcnt vmcnt(1) lgkmcnt(10)
	v_mul_f64 v[72:73], v[70:71], v[80:81]
	v_fma_f64 v[168:169], v[68:69], v[78:79], -v[72:73]
	v_mul_f64 v[170:171], v[68:69], v[80:81]
	s_waitcnt vmcnt(0) lgkmcnt(9)
	v_mul_f64 v[68:69], v[66:67], v[76:77]
	v_fma_f64 v[172:173], v[64:65], v[74:75], -v[68:69]
	v_mul_f64 v[174:175], v[64:65], v[76:77]
	v_lshrrev_b16_e32 v64, 2, v181
	v_mul_u32_u24_e32 v64, 0x6d3b, v64
	v_lshrrev_b32_e32 v64, 21, v64
	v_mul_lo_u16_e32 v64, 0x12c, v64
	v_sub_u16_e32 v199, v181, v64
	v_lshlrev_b16_e32 v64, 5, v199
	v_fmac_f64_e32 v[174:175], v[66:67], v[74:75]
	v_add_co_u32_e32 v66, vcc, s10, v64
	v_addc_co_u32_e32 v67, vcc, 0, v176, vcc
	v_add_co_u32_e32 v64, vcc, s11, v66
	v_addc_co_u32_e32 v65, vcc, 0, v67, vcc
	;; [unrolled: 33-line block ×3, first 2 shown]
	v_add_co_u32_e32 v58, vcc, s27, v58
	v_addc_co_u32_e32 v59, vcc, 0, v59, vcc
	global_load_dwordx4 v[252:255], v[58:59], off offset:656
	s_nop 0
	global_load_dwordx4 v[58:61], v[56:57], off offset:16
	v_accvgpr_write_b32 a12, v70
	v_accvgpr_write_b32 a13, v71
	;; [unrolled: 1-line block ×8, first 2 shown]
	v_fmac_f64_e32 v[208:209], v[62:63], v[70:71]
	s_waitcnt vmcnt(1) lgkmcnt(4)
	v_mul_f64 v[56:57], v[54:55], v[254:255]
	v_fma_f64 v[214:215], v[52:53], v[252:253], -v[56:57]
	v_mul_f64 v[216:217], v[52:53], v[254:255]
	s_waitcnt vmcnt(0) lgkmcnt(3)
	v_mul_f64 v[52:53], v[50:51], v[60:61]
	v_fma_f64 v[218:219], v[48:49], v[58:59], -v[52:53]
	v_mul_f64 v[220:221], v[48:49], v[60:61]
	v_lshrrev_b16_e32 v48, 2, v179
	v_mul_u32_u24_e32 v48, 0x6d3b, v48
	v_lshrrev_b32_e32 v48, 21, v48
	v_mul_lo_u16_e32 v48, 0x12c, v48
	v_sub_u16_e32 v205, v179, v48
	v_lshlrev_b16_e32 v48, 5, v205
	v_fmac_f64_e32 v[220:221], v[50:51], v[58:59]
	v_add_co_u32_e32 v50, vcc, s10, v48
	v_addc_co_u32_e32 v51, vcc, 0, v176, vcc
	v_add_co_u32_e32 v48, vcc, s11, v50
	v_addc_co_u32_e32 v49, vcc, 0, v51, vcc
	v_add_co_u32_e32 v50, vcc, s27, v50
	v_addc_co_u32_e32 v51, vcc, 0, v51, vcc
	global_load_dwordx4 v[244:247], v[50:51], off offset:656
	s_nop 0
	global_load_dwordx4 v[50:53], v[48:49], off offset:16
	v_accvgpr_write_b32 a79, v61
	v_accvgpr_write_b32 a78, v60
	;; [unrolled: 1-line block ×4, first 2 shown]
	v_fmac_f64_e32 v[216:217], v[54:55], v[252:253]
	s_waitcnt lgkmcnt(0)
	s_barrier
	v_cmp_lt_u16_e32 vcc, 29, v230
	s_movk_i32 s11, 0x384
	v_lshlrev_b32_e32 v230, 4, v205
	s_waitcnt vmcnt(1)
	v_mul_f64 v[48:49], v[46:47], v[246:247]
	v_fma_f64 v[222:223], v[44:45], v[244:245], -v[48:49]
	v_mul_f64 v[224:225], v[44:45], v[246:247]
	s_waitcnt vmcnt(0)
	v_mul_f64 v[44:45], v[42:43], v[52:53]
	v_fma_f64 v[226:227], v[40:41], v[50:51], -v[44:45]
	v_mul_f64 v[228:229], v[40:41], v[52:53]
	v_add_f64 v[40:41], v[36:37], v[122:123]
	v_add_f64 v[116:117], v[40:41], v[126:127]
	v_add_f64 v[40:41], v[122:123], v[126:127]
	v_fmac_f64_e32 v[36:37], -0.5, v[40:41]
	v_add_f64 v[40:41], v[124:125], -v[112:113]
	v_fma_f64 v[108:109], s[2:3], v[40:41], v[36:37]
	v_fmac_f64_e32 v[36:37], s[4:5], v[40:41]
	v_add_f64 v[40:41], v[38:39], v[124:125]
	v_add_f64 v[118:119], v[40:41], v[112:113]
	v_add_f64 v[40:41], v[124:125], v[112:113]
	v_fmac_f64_e32 v[38:39], -0.5, v[40:41]
	v_add_f64 v[40:41], v[122:123], -v[126:127]
	v_fma_f64 v[110:111], s[4:5], v[40:41], v[38:39]
	v_fmac_f64_e32 v[38:39], s[2:3], v[40:41]
	;; [unrolled: 7-line block ×15, first 2 shown]
	v_add_f64 v[40:41], v[10:11], v[208:209]
	v_add_f64 v[62:63], v[40:41], v[212:213]
	;; [unrolled: 1-line block ×3, first 2 shown]
	v_fmac_f64_e32 v[10:11], -0.5, v[40:41]
	v_add_f64 v[40:41], v[206:207], -v[210:211]
	v_accvgpr_write_b32 a4, v50
	v_fma_f64 v[58:59], s[4:5], v[40:41], v[10:11]
	v_fmac_f64_e32 v[10:11], s[2:3], v[40:41]
	v_add_f64 v[40:41], v[4:5], v[214:215]
	v_accvgpr_write_b32 a5, v51
	v_accvgpr_write_b32 a6, v52
	;; [unrolled: 1-line block ×3, first 2 shown]
	v_add_f64 v[52:53], v[40:41], v[218:219]
	v_add_f64 v[40:41], v[214:215], v[218:219]
	v_fmac_f64_e32 v[4:5], -0.5, v[40:41]
	v_add_f64 v[40:41], v[216:217], -v[220:221]
	v_fma_f64 v[48:49], s[2:3], v[40:41], v[4:5]
	v_fmac_f64_e32 v[4:5], s[4:5], v[40:41]
	v_add_f64 v[40:41], v[6:7], v[216:217]
	v_add_f64 v[54:55], v[40:41], v[220:221]
	;; [unrolled: 1-line block ×3, first 2 shown]
	v_fmac_f64_e32 v[6:7], -0.5, v[40:41]
	v_add_f64 v[40:41], v[214:215], -v[218:219]
	v_fmac_f64_e32 v[228:229], v[42:43], v[50:51]
	v_fma_f64 v[50:51], s[4:5], v[40:41], v[6:7]
	v_fmac_f64_e32 v[6:7], s[2:3], v[40:41]
	v_add_f64 v[40:41], v[0:1], v[222:223]
	v_fmac_f64_e32 v[224:225], v[46:47], v[244:245]
	v_add_f64 v[44:45], v[40:41], v[226:227]
	v_add_f64 v[40:41], v[222:223], v[226:227]
	v_fmac_f64_e32 v[0:1], -0.5, v[40:41]
	v_add_f64 v[42:43], v[224:225], -v[228:229]
	ds_write_b128 v185, v[116:119]
	ds_write_b128 v185, v[108:111] offset:4800
	ds_write_b128 v185, v[36:39] offset:9600
	;; [unrolled: 1-line block ×8, first 2 shown]
	v_mov_b32_e32 v28, 0x384
	v_fma_f64 v[40:41], s[2:3], v[42:43], v[0:1]
	v_fmac_f64_e32 v[0:1], s[4:5], v[42:43]
	v_add_f64 v[42:43], v[2:3], v[224:225]
	v_cndmask_b32_e32 v28, 0, v28, vcc
	v_add_f64 v[46:47], v[42:43], v[228:229]
	v_add_f64 v[42:43], v[224:225], v[228:229]
	v_add_lshl_u32 v229, v120, v28, 4
	ds_write_b128 v229, v[92:95]
	ds_write_b128 v229, v[88:91] offset:4800
	ds_write_b128 v229, v[24:27] offset:9600
	;; [unrolled: 1-line block ×8, first 2 shown]
	v_mad_legacy_u16 v16, v121, s11, v198
	s_movk_i32 s11, 0x3810
	v_add_co_u32_e32 v120, vcc, s11, v190
	v_fmac_f64_e32 v[2:3], -0.5, v[42:43]
	v_add_f64 v[122:123], v[222:223], -v[226:227]
	v_addc_co_u32_e32 v121, vcc, 0, v191, vcc
	v_fma_f64 v[42:43], s[4:5], v[122:123], v[2:3]
	v_fmac_f64_e32 v[2:3], s[2:3], v[122:123]
	v_add_co_u32_e32 v122, vcc, s26, v190
	v_lshlrev_b32_e32 v228, 4, v16
	v_lshlrev_b32_e32 v198, 4, v199
	;; [unrolled: 1-line block ×3, first 2 shown]
	v_addc_co_u32_e32 v123, vcc, 0, v191, vcc
	ds_write_b128 v228, v[68:71]
	ds_write_b128 v228, v[64:67] offset:4800
	ds_write_b128 v228, v[12:15] offset:9600
	ds_write_b128 v198, v[60:63] offset:28800
	ds_write_b128 v198, v[56:59] offset:33600
	ds_write_b128 v198, v[8:11] offset:38400
	ds_write_b128 v199, v[52:55] offset:28800
	ds_write_b128 v199, v[48:51] offset:33600
	ds_write_b128 v199, v[4:7] offset:38400
	ds_write_b128 v230, v[44:47] offset:28800
	ds_write_b128 v230, v[40:43] offset:33600
	ds_write_b128 v230, v[0:3] offset:38400
	s_waitcnt lgkmcnt(0)
	s_barrier
	ds_read_b128 v[0:3], v185
	ds_read_b128 v[116:119], v185 offset:14400
	ds_read_b128 v[112:115], v185 offset:28800
	;; [unrolled: 1-line block ×29, first 2 shown]
	global_load_dwordx4 v[248:251], v[122:123], off offset:2064
	global_load_dwordx4 v[124:127], v[120:121], off offset:16
	s_waitcnt vmcnt(1) lgkmcnt(14)
	v_mul_f64 v[120:121], v[118:119], v[250:251]
	s_waitcnt vmcnt(0)
	v_pk_mov_b32 v[128:129], v[126:127], v[126:127] op_sel:[0,1]
	v_fma_f64 v[120:121], v[116:117], v[248:249], -v[120:121]
	v_mul_f64 v[122:123], v[116:117], v[250:251]
	v_pk_mov_b32 v[126:127], v[124:125], v[124:125] op_sel:[0,1]
	v_mul_f64 v[116:117], v[114:115], v[128:129]
	v_fma_f64 v[124:125], v[112:113], v[126:127], -v[116:117]
	v_mul_f64 v[112:113], v[112:113], v[128:129]
	v_fmac_f64_e32 v[112:113], v[114:115], v[126:127]
	v_add_co_u32_e32 v114, vcc, s11, v192
	v_addc_co_u32_e32 v115, vcc, 0, v193, vcc
	v_add_co_u32_e32 v116, vcc, s26, v192
	v_addc_co_u32_e32 v117, vcc, 0, v193, vcc
	global_load_dwordx4 v[236:239], v[116:117], off offset:2064
	global_load_dwordx4 v[240:243], v[114:115], off offset:16
	v_accvgpr_write_b32 a0, v126
	v_accvgpr_write_b32 a1, v127
	;; [unrolled: 1-line block ×4, first 2 shown]
	v_fmac_f64_e32 v[122:123], v[118:119], v[248:249]
	s_waitcnt vmcnt(1)
	v_mul_f64 v[114:115], v[110:111], v[238:239]
	v_fma_f64 v[126:127], v[108:109], v[236:237], -v[114:115]
	v_mul_f64 v[128:129], v[108:109], v[238:239]
	s_waitcnt vmcnt(0)
	v_mul_f64 v[108:109], v[106:107], v[242:243]
	v_fma_f64 v[130:131], v[104:105], v[240:241], -v[108:109]
	v_mul_f64 v[132:133], v[104:105], v[242:243]
	v_add_co_u32_e32 v104, vcc, s11, v196
	v_addc_co_u32_e32 v105, vcc, 0, v197, vcc
	v_fmac_f64_e32 v[132:133], v[106:107], v[240:241]
	v_add_co_u32_e32 v106, vcc, s26, v196
	v_addc_co_u32_e32 v107, vcc, 0, v197, vcc
	global_load_dwordx4 v[224:227], v[106:107], off offset:2064
	global_load_dwordx4 v[232:235], v[104:105], off offset:16
	v_fmac_f64_e32 v[128:129], v[110:111], v[236:237]
	s_waitcnt vmcnt(1)
	v_mul_f64 v[104:105], v[102:103], v[226:227]
	v_fma_f64 v[134:135], v[100:101], v[224:225], -v[104:105]
	v_mul_f64 v[100:101], v[100:101], v[226:227]
	v_fmac_f64_e32 v[100:101], v[102:103], v[224:225]
	s_waitcnt vmcnt(0)
	v_mul_f64 v[102:103], v[98:99], v[234:235]
	v_fma_f64 v[102:103], v[96:97], v[232:233], -v[102:103]
	v_mul_f64 v[136:137], v[96:97], v[234:235]
	v_lshlrev_b32_e32 v96, 5, v194
	v_fmac_f64_e32 v[136:137], v[98:99], v[232:233]
	v_add_co_u32_e32 v98, vcc, s10, v96
	v_addc_co_u32_e32 v99, vcc, 0, v176, vcc
	v_add_co_u32_e32 v96, vcc, s11, v98
	v_addc_co_u32_e32 v97, vcc, 0, v99, vcc
	;; [unrolled: 2-line block ×3, first 2 shown]
	global_load_dwordx4 v[216:219], v[98:99], off offset:2064
	global_load_dwordx4 v[220:223], v[96:97], off offset:16
	s_waitcnt vmcnt(1)
	v_mul_f64 v[96:97], v[94:95], v[218:219]
	v_fma_f64 v[138:139], v[92:93], v[216:217], -v[96:97]
	v_mul_f64 v[92:93], v[92:93], v[218:219]
	v_fmac_f64_e32 v[92:93], v[94:95], v[216:217]
	s_waitcnt vmcnt(0)
	v_mul_f64 v[94:95], v[90:91], v[222:223]
	v_fma_f64 v[94:95], v[88:89], v[220:221], -v[94:95]
	v_mul_f64 v[88:89], v[88:89], v[222:223]
	v_fmac_f64_e32 v[88:89], v[90:91], v[220:221]
	v_accvgpr_read_b32 v90, a91
	v_lshlrev_b32_e32 v90, 5, v90
	v_add_co_u32_e32 v96, vcc, s10, v90
	v_addc_co_u32_e32 v97, vcc, 0, v176, vcc
	v_add_co_u32_e32 v90, vcc, s11, v96
	v_addc_co_u32_e32 v91, vcc, 0, v97, vcc
	;; [unrolled: 2-line block ×3, first 2 shown]
	global_load_dwordx4 v[208:211], v[96:97], off offset:2064
	global_load_dwordx4 v[212:215], v[90:91], off offset:16
	s_waitcnt vmcnt(1)
	v_mul_f64 v[90:91], v[86:87], v[210:211]
	v_fma_f64 v[90:91], v[84:85], v[208:209], -v[90:91]
	v_mul_f64 v[84:85], v[84:85], v[210:211]
	v_fmac_f64_e32 v[84:85], v[86:87], v[208:209]
	s_waitcnt vmcnt(0)
	v_mul_f64 v[86:87], v[82:83], v[214:215]
	v_fma_f64 v[86:87], v[80:81], v[212:213], -v[86:87]
	v_mul_f64 v[80:81], v[80:81], v[214:215]
	v_fmac_f64_e32 v[80:81], v[82:83], v[212:213]
	v_lshlrev_b32_e32 v82, 5, v195
	v_add_co_u32_e32 v96, vcc, s10, v82
	v_addc_co_u32_e32 v97, vcc, 0, v176, vcc
	v_add_co_u32_e32 v82, vcc, s11, v96
	v_addc_co_u32_e32 v83, vcc, 0, v97, vcc
	;; [unrolled: 2-line block ×3, first 2 shown]
	global_load_dwordx4 v[194:197], v[96:97], off offset:2064
	global_load_dwordx4 v[204:207], v[82:83], off offset:16
	s_waitcnt vmcnt(1) lgkmcnt(13)
	v_mul_f64 v[82:83], v[78:79], v[196:197]
	v_fma_f64 v[82:83], v[76:77], v[194:195], -v[82:83]
	v_mul_f64 v[140:141], v[76:77], v[196:197]
	s_waitcnt vmcnt(0) lgkmcnt(12)
	v_mul_f64 v[76:77], v[74:75], v[206:207]
	v_fma_f64 v[142:143], v[72:73], v[204:205], -v[76:77]
	v_mul_f64 v[72:73], v[72:73], v[206:207]
	v_fmac_f64_e32 v[72:73], v[74:75], v[204:205]
	v_lshlrev_b32_e32 v74, 5, v189
	v_add_co_u32_e32 v76, vcc, s10, v74
	v_addc_co_u32_e32 v77, vcc, 0, v176, vcc
	v_add_co_u32_e32 v74, vcc, s11, v76
	v_addc_co_u32_e32 v75, vcc, 0, v77, vcc
	v_add_co_u32_e32 v76, vcc, s26, v76
	v_addc_co_u32_e32 v77, vcc, 0, v77, vcc
	global_load_dwordx4 v[172:175], v[76:77], off offset:2064
	global_load_dwordx4 v[190:193], v[74:75], off offset:16
	v_fmac_f64_e32 v[140:141], v[78:79], v[194:195]
	s_waitcnt vmcnt(1) lgkmcnt(10)
	v_mul_f64 v[74:75], v[70:71], v[174:175]
	v_fma_f64 v[74:75], v[68:69], v[172:173], -v[74:75]
	v_mul_f64 v[144:145], v[68:69], v[174:175]
	s_waitcnt vmcnt(0) lgkmcnt(9)
	v_mul_f64 v[68:69], v[66:67], v[192:193]
	v_fma_f64 v[146:147], v[64:65], v[190:191], -v[68:69]
	v_mul_f64 v[64:65], v[64:65], v[192:193]
	v_fmac_f64_e32 v[64:65], v[66:67], v[190:191]
	v_lshlrev_b32_e32 v66, 5, v181
	v_add_co_u32_e32 v68, vcc, s10, v66
	v_addc_co_u32_e32 v69, vcc, 0, v176, vcc
	v_add_co_u32_e32 v66, vcc, s11, v68
	v_addc_co_u32_e32 v67, vcc, 0, v69, vcc
	;; [unrolled: 2-line block ×3, first 2 shown]
	global_load_dwordx4 v[164:167], v[68:69], off offset:2064
	global_load_dwordx4 v[168:171], v[66:67], off offset:16
	v_fmac_f64_e32 v[144:145], v[70:71], v[172:173]
	s_waitcnt vmcnt(1) lgkmcnt(7)
	v_mul_f64 v[66:67], v[62:63], v[166:167]
	v_fma_f64 v[66:67], v[60:61], v[164:165], -v[66:67]
	v_mul_f64 v[60:61], v[60:61], v[166:167]
	v_fmac_f64_e32 v[60:61], v[62:63], v[164:165]
	s_waitcnt vmcnt(0) lgkmcnt(6)
	v_mul_f64 v[62:63], v[58:59], v[170:171]
	v_fma_f64 v[62:63], v[56:57], v[168:169], -v[62:63]
	v_mul_f64 v[56:57], v[56:57], v[170:171]
	v_fmac_f64_e32 v[56:57], v[58:59], v[168:169]
	v_lshlrev_b32_e32 v58, 5, v180
	v_add_co_u32_e32 v68, vcc, s10, v58
	v_addc_co_u32_e32 v69, vcc, 0, v176, vcc
	v_add_co_u32_e32 v58, vcc, s11, v68
	v_addc_co_u32_e32 v59, vcc, 0, v69, vcc
	;; [unrolled: 2-line block ×3, first 2 shown]
	global_load_dwordx4 v[156:159], v[68:69], off offset:2064
	global_load_dwordx4 v[160:163], v[58:59], off offset:16
	s_waitcnt vmcnt(1) lgkmcnt(4)
	v_mul_f64 v[58:59], v[54:55], v[158:159]
	v_fma_f64 v[58:59], v[52:53], v[156:157], -v[58:59]
	v_mul_f64 v[52:53], v[52:53], v[158:159]
	v_fmac_f64_e32 v[52:53], v[54:55], v[156:157]
	s_waitcnt vmcnt(0) lgkmcnt(3)
	v_mul_f64 v[54:55], v[50:51], v[162:163]
	v_fma_f64 v[54:55], v[48:49], v[160:161], -v[54:55]
	v_mul_f64 v[48:49], v[48:49], v[162:163]
	v_fmac_f64_e32 v[48:49], v[50:51], v[160:161]
	v_lshlrev_b32_e32 v50, 5, v179
	v_add_co_u32_e32 v68, vcc, s10, v50
	v_addc_co_u32_e32 v69, vcc, 0, v176, vcc
	v_add_co_u32_e32 v50, vcc, s11, v68
	v_addc_co_u32_e32 v51, vcc, 0, v69, vcc
	;; [unrolled: 2-line block ×3, first 2 shown]
	global_load_dwordx4 v[148:151], v[68:69], off offset:2064
	global_load_dwordx4 v[152:155], v[50:51], off offset:16
	s_mov_b32 s10, 0xa8c0
	s_waitcnt vmcnt(1) lgkmcnt(1)
	v_mul_f64 v[50:51], v[46:47], v[150:151]
	v_fma_f64 v[50:51], v[44:45], v[148:149], -v[50:51]
	v_mul_f64 v[44:45], v[44:45], v[150:151]
	v_fmac_f64_e32 v[44:45], v[46:47], v[148:149]
	s_waitcnt vmcnt(0) lgkmcnt(0)
	v_mul_f64 v[46:47], v[42:43], v[154:155]
	v_fma_f64 v[46:47], v[40:41], v[152:153], -v[46:47]
	v_mul_f64 v[40:41], v[40:41], v[154:155]
	v_fmac_f64_e32 v[40:41], v[42:43], v[152:153]
	v_add_f64 v[42:43], v[0:1], v[120:121]
	v_add_f64 v[116:117], v[42:43], v[124:125]
	v_add_f64 v[42:43], v[120:121], v[124:125]
	v_fmac_f64_e32 v[0:1], -0.5, v[42:43]
	v_add_f64 v[42:43], v[122:123], -v[112:113]
	v_fma_f64 v[108:109], s[2:3], v[42:43], v[0:1]
	v_fmac_f64_e32 v[0:1], s[4:5], v[42:43]
	v_add_f64 v[42:43], v[2:3], v[122:123]
	v_add_f64 v[118:119], v[42:43], v[112:113]
	v_add_f64 v[42:43], v[122:123], v[112:113]
	v_fmac_f64_e32 v[2:3], -0.5, v[42:43]
	v_add_f64 v[42:43], v[120:121], -v[124:125]
	v_fma_f64 v[110:111], s[4:5], v[42:43], v[2:3]
	;; [unrolled: 7-line block ×20, first 2 shown]
	v_fmac_f64_e32 v[38:39], s[2:3], v[40:41]
	ds_write_b128 v185, v[116:119]
	ds_write_b128 v185, v[108:111] offset:14400
	ds_write_b128 v185, v[0:3] offset:28800
	;; [unrolled: 1-line block ×29, first 2 shown]
	v_accvgpr_read_b32 v4, a80
	v_accvgpr_read_b32 v5, a81
	s_waitcnt lgkmcnt(0)
	s_barrier
	global_load_dwordx4 v[4:7], v[4:5], off offset:2240
	ds_read_b128 v[0:3], v185
	v_add_co_u32_e32 v14, vcc, s10, v178
	v_addc_co_u32_e32 v15, vcc, 0, v177, vcc
	s_mov_b32 s10, 0xe000
	v_add_co_u32_e32 v16, vcc, s10, v178
	v_addc_co_u32_e32 v17, vcc, 0, v177, vcc
	s_mov_b32 s10, 0x11000
	s_waitcnt vmcnt(0) lgkmcnt(0)
	v_mul_f64 v[8:9], v[2:3], v[6:7]
	v_mul_f64 v[10:11], v[0:1], v[6:7]
	v_fma_f64 v[8:9], v[0:1], v[4:5], -v[8:9]
	v_fmac_f64_e32 v[10:11], v[2:3], v[4:5]
	global_load_dwordx4 v[4:7], v[16:17], off offset:256
	ds_read_b128 v[0:3], v185 offset:14400
	ds_write_b128 v185, v[8:11]
	s_waitcnt vmcnt(0) lgkmcnt(1)
	v_mul_f64 v[8:9], v[2:3], v[6:7]
	v_fma_f64 v[8:9], v[0:1], v[4:5], -v[8:9]
	v_mul_f64 v[10:11], v[0:1], v[6:7]
	v_add_co_u32_e32 v0, vcc, s10, v178
	v_fmac_f64_e32 v[10:11], v[2:3], v[4:5]
	v_addc_co_u32_e32 v1, vcc, 0, v177, vcc
	ds_write_b128 v185, v[8:11] offset:14400
	global_load_dwordx4 v[6:9], v[0:1], off offset:2368
	ds_read_b128 v[2:5], v185 offset:28800
	s_mov_b32 s10, 0x12000
	s_waitcnt vmcnt(0) lgkmcnt(0)
	v_mul_f64 v[10:11], v[4:5], v[8:9]
	v_mul_f64 v[12:13], v[2:3], v[8:9]
	v_fma_f64 v[10:11], v[2:3], v[6:7], -v[10:11]
	v_fmac_f64_e32 v[12:13], v[4:5], v[6:7]
	global_load_dwordx4 v[6:9], v[14:15], off offset:1440
	ds_read_b128 v[2:5], v185 offset:1440
	ds_write_b128 v185, v[10:13] offset:28800
	s_waitcnt vmcnt(0) lgkmcnt(1)
	v_mul_f64 v[10:11], v[4:5], v[8:9]
	v_mul_f64 v[12:13], v[2:3], v[8:9]
	v_fma_f64 v[10:11], v[2:3], v[6:7], -v[10:11]
	v_fmac_f64_e32 v[12:13], v[4:5], v[6:7]
	global_load_dwordx4 v[6:9], v[16:17], off offset:1696
	ds_read_b128 v[2:5], v185 offset:15840
	ds_write_b128 v185, v[10:13] offset:1440
	s_waitcnt vmcnt(0) lgkmcnt(1)
	v_mul_f64 v[10:11], v[4:5], v[8:9]
	v_mul_f64 v[12:13], v[2:3], v[8:9]
	v_fma_f64 v[10:11], v[2:3], v[6:7], -v[10:11]
	v_fmac_f64_e32 v[12:13], v[4:5], v[6:7]
	global_load_dwordx4 v[6:9], v[0:1], off offset:3808
	ds_read_b128 v[2:5], v185 offset:30240
	ds_write_b128 v185, v[10:13] offset:15840
	s_waitcnt vmcnt(0) lgkmcnt(1)
	v_mul_f64 v[10:11], v[4:5], v[8:9]
	v_mul_f64 v[12:13], v[2:3], v[8:9]
	v_fma_f64 v[10:11], v[2:3], v[6:7], -v[10:11]
	v_fmac_f64_e32 v[12:13], v[4:5], v[6:7]
	global_load_dwordx4 v[6:9], v[14:15], off offset:2880
	ds_read_b128 v[2:5], v185 offset:2880
	ds_write_b128 v185, v[10:13] offset:30240
	v_add_co_u32_e32 v14, vcc, s10, v178
	v_addc_co_u32_e32 v15, vcc, 0, v177, vcc
	s_mov_b32 s10, 0xb000
	s_waitcnt vmcnt(0) lgkmcnt(1)
	v_mul_f64 v[10:11], v[4:5], v[8:9]
	v_mul_f64 v[12:13], v[2:3], v[8:9]
	v_fma_f64 v[10:11], v[2:3], v[6:7], -v[10:11]
	v_fmac_f64_e32 v[12:13], v[4:5], v[6:7]
	global_load_dwordx4 v[6:9], v[16:17], off offset:3136
	ds_read_b128 v[2:5], v185 offset:17280
	ds_write_b128 v185, v[10:13] offset:2880
	v_add_co_u32_e32 v16, vcc, s10, v178
	v_addc_co_u32_e32 v17, vcc, 0, v177, vcc
	s_mov_b32 s10, 0xf000
	v_add_co_u32_e32 v18, vcc, s10, v178
	v_addc_co_u32_e32 v19, vcc, 0, v177, vcc
	s_mov_b32 s10, 0xc000
	s_waitcnt vmcnt(0) lgkmcnt(1)
	v_mul_f64 v[10:11], v[4:5], v[8:9]
	v_mul_f64 v[12:13], v[2:3], v[8:9]
	v_fma_f64 v[10:11], v[2:3], v[6:7], -v[10:11]
	v_fmac_f64_e32 v[12:13], v[4:5], v[6:7]
	global_load_dwordx4 v[6:9], v[14:15], off offset:1152
	ds_read_b128 v[2:5], v185 offset:31680
	ds_write_b128 v185, v[10:13] offset:17280
	s_waitcnt vmcnt(0) lgkmcnt(1)
	v_mul_f64 v[10:11], v[4:5], v[8:9]
	v_mul_f64 v[12:13], v[2:3], v[8:9]
	v_fma_f64 v[10:11], v[2:3], v[6:7], -v[10:11]
	v_fmac_f64_e32 v[12:13], v[4:5], v[6:7]
	global_load_dwordx4 v[6:9], v[16:17], off offset:2464
	ds_read_b128 v[2:5], v185 offset:4320
	ds_write_b128 v185, v[10:13] offset:31680
	;; [unrolled: 8-line block ×6, first 2 shown]
	s_waitcnt vmcnt(0) lgkmcnt(1)
	v_mul_f64 v[10:11], v[4:5], v[8:9]
	v_mul_f64 v[12:13], v[2:3], v[8:9]
	v_fma_f64 v[10:11], v[2:3], v[6:7], -v[10:11]
	v_fmac_f64_e32 v[12:13], v[4:5], v[6:7]
	global_load_dwordx4 v[6:9], v[14:15], off offset:4032
	ds_read_b128 v[2:5], v185 offset:34560
	v_add_co_u32_e32 v14, vcc, s10, v178
	ds_write_b128 v185, v[10:13] offset:20160
	v_addc_co_u32_e32 v15, vcc, 0, v177, vcc
	s_mov_b32 s10, 0x13000
	v_add_co_u32_e32 v16, vcc, s10, v178
	v_addc_co_u32_e32 v17, vcc, 0, v177, vcc
	s_mov_b32 s10, 0x10000
	s_waitcnt vmcnt(0) lgkmcnt(1)
	v_mul_f64 v[10:11], v[4:5], v[8:9]
	v_mul_f64 v[12:13], v[2:3], v[8:9]
	v_fma_f64 v[10:11], v[2:3], v[6:7], -v[10:11]
	v_fmac_f64_e32 v[12:13], v[4:5], v[6:7]
	global_load_dwordx4 v[6:9], v[14:15], off offset:1248
	ds_read_b128 v[2:5], v185 offset:7200
	ds_write_b128 v185, v[10:13] offset:34560
	s_waitcnt vmcnt(0) lgkmcnt(1)
	v_mul_f64 v[10:11], v[4:5], v[8:9]
	v_mul_f64 v[12:13], v[2:3], v[8:9]
	v_fma_f64 v[10:11], v[2:3], v[6:7], -v[10:11]
	v_fmac_f64_e32 v[12:13], v[4:5], v[6:7]
	global_load_dwordx4 v[6:9], v[18:19], off offset:3360
	ds_read_b128 v[2:5], v185 offset:21600
	ds_write_b128 v185, v[10:13] offset:7200
	v_add_co_u32_e32 v18, vcc, s10, v178
	v_addc_co_u32_e32 v19, vcc, 0, v177, vcc
	s_mov_b32 s10, 0xd000
	v_add_co_u32_e32 v20, vcc, s10, v178
	v_addc_co_u32_e32 v21, vcc, 0, v177, vcc
	s_mov_b32 s10, 0x14000
	s_waitcnt vmcnt(0) lgkmcnt(1)
	v_mul_f64 v[10:11], v[4:5], v[8:9]
	v_mul_f64 v[12:13], v[2:3], v[8:9]
	v_fma_f64 v[10:11], v[2:3], v[6:7], -v[10:11]
	v_fmac_f64_e32 v[12:13], v[4:5], v[6:7]
	global_load_dwordx4 v[6:9], v[16:17], off offset:1376
	ds_read_b128 v[2:5], v185 offset:36000
	ds_write_b128 v185, v[10:13] offset:21600
	s_waitcnt vmcnt(0) lgkmcnt(1)
	v_mul_f64 v[10:11], v[4:5], v[8:9]
	v_mul_f64 v[12:13], v[2:3], v[8:9]
	v_fma_f64 v[10:11], v[2:3], v[6:7], -v[10:11]
	v_fmac_f64_e32 v[12:13], v[4:5], v[6:7]
	global_load_dwordx4 v[6:9], v[14:15], off offset:2688
	ds_read_b128 v[2:5], v185 offset:8640
	ds_write_b128 v185, v[10:13] offset:36000
	;; [unrolled: 8-line block ×6, first 2 shown]
	s_waitcnt vmcnt(0) lgkmcnt(1)
	v_mul_f64 v[12:13], v[2:3], v[8:9]
	v_mul_f64 v[10:11], v[4:5], v[8:9]
	v_fmac_f64_e32 v[12:13], v[4:5], v[6:7]
	v_add_co_u32_e32 v4, vcc, s10, v178
	v_fma_f64 v[10:11], v[2:3], v[6:7], -v[10:11]
	v_addc_co_u32_e32 v5, vcc, 0, v177, vcc
	ds_write_b128 v185, v[10:13] offset:24480
	global_load_dwordx4 v[10:13], v[4:5], off offset:160
	ds_read_b128 v[6:9], v185 offset:38880
	s_waitcnt vmcnt(0) lgkmcnt(0)
	v_mul_f64 v[2:3], v[8:9], v[12:13]
	v_mul_f64 v[16:17], v[6:7], v[12:13]
	v_fma_f64 v[14:15], v[6:7], v[10:11], -v[2:3]
	v_fmac_f64_e32 v[16:17], v[8:9], v[10:11]
	global_load_dwordx4 v[10:13], v[20:21], off offset:1472
	ds_read_b128 v[6:9], v185 offset:11520
	ds_write_b128 v185, v[14:17] offset:38880
	s_waitcnt vmcnt(0) lgkmcnt(1)
	v_mul_f64 v[2:3], v[8:9], v[12:13]
	v_mul_f64 v[16:17], v[6:7], v[12:13]
	v_fma_f64 v[14:15], v[6:7], v[10:11], -v[2:3]
	v_fmac_f64_e32 v[16:17], v[8:9], v[10:11]
	global_load_dwordx4 v[10:13], v[18:19], off offset:3584
	ds_read_b128 v[6:9], v185 offset:25920
	ds_write_b128 v185, v[14:17] offset:11520
	s_waitcnt vmcnt(0) lgkmcnt(1)
	v_mul_f64 v[2:3], v[8:9], v[12:13]
	v_mul_f64 v[16:17], v[6:7], v[12:13]
	v_fma_f64 v[14:15], v[6:7], v[10:11], -v[2:3]
	v_fmac_f64_e32 v[16:17], v[8:9], v[10:11]
	global_load_dwordx4 v[10:13], v[4:5], off offset:1600
	ds_read_b128 v[6:9], v185 offset:40320
	ds_write_b128 v185, v[14:17] offset:25920
	s_waitcnt vmcnt(0) lgkmcnt(1)
	v_mul_f64 v[2:3], v[8:9], v[12:13]
	v_mul_f64 v[16:17], v[6:7], v[12:13]
	v_fma_f64 v[14:15], v[6:7], v[10:11], -v[2:3]
	v_fmac_f64_e32 v[16:17], v[8:9], v[10:11]
	global_load_dwordx4 v[10:13], v[20:21], off offset:2912
	ds_read_b128 v[6:9], v185 offset:12960
	ds_write_b128 v185, v[14:17] offset:40320
	s_waitcnt vmcnt(0) lgkmcnt(1)
	v_mul_f64 v[2:3], v[8:9], v[12:13]
	v_fma_f64 v[14:15], v[6:7], v[10:11], -v[2:3]
	global_load_dwordx4 v[0:3], v[0:1], off offset:928
	v_mul_f64 v[16:17], v[6:7], v[12:13]
	v_fmac_f64_e32 v[16:17], v[8:9], v[10:11]
	ds_read_b128 v[6:9], v185 offset:27360
	ds_write_b128 v185, v[14:17] offset:12960
	s_waitcnt vmcnt(0) lgkmcnt(1)
	v_mul_f64 v[10:11], v[8:9], v[2:3]
	v_fma_f64 v[10:11], v[6:7], v[0:1], -v[10:11]
	v_mul_f64 v[12:13], v[6:7], v[2:3]
	global_load_dwordx4 v[4:7], v[4:5], off offset:3040
	v_fmac_f64_e32 v[12:13], v[8:9], v[0:1]
	ds_read_b128 v[0:3], v185 offset:41760
	ds_write_b128 v185, v[10:13] offset:27360
	s_waitcnt vmcnt(0) lgkmcnt(1)
	v_mul_f64 v[8:9], v[2:3], v[6:7]
	v_mul_f64 v[10:11], v[0:1], v[6:7]
	v_fma_f64 v[8:9], v[0:1], v[4:5], -v[8:9]
	v_fmac_f64_e32 v[10:11], v[2:3], v[4:5]
	ds_write_b128 v185, v[8:11] offset:41760
	s_waitcnt lgkmcnt(0)
	s_barrier
	ds_read_b128 v[36:39], v185
	ds_read_b128 v[96:99], v185 offset:14400
	ds_read_b128 v[100:103], v185 offset:28800
	;; [unrolled: 1-line block ×29, first 2 shown]
	s_waitcnt lgkmcnt(14)
	v_add_f64 v[122:123], v[96:97], v[100:101]
	v_add_f64 v[120:121], v[36:37], v[96:97]
	v_fmac_f64_e32 v[36:37], -0.5, v[122:123]
	v_add_f64 v[122:123], v[98:99], -v[102:103]
	v_fma_f64 v[124:125], s[4:5], v[122:123], v[36:37]
	v_fmac_f64_e32 v[36:37], s[2:3], v[122:123]
	v_add_f64 v[122:123], v[38:39], v[98:99]
	v_add_f64 v[98:99], v[98:99], v[102:103]
	v_fmac_f64_e32 v[38:39], -0.5, v[98:99]
	v_add_f64 v[96:97], v[96:97], -v[100:101]
	v_fma_f64 v[126:127], s[2:3], v[96:97], v[38:39]
	v_fmac_f64_e32 v[38:39], s[4:5], v[96:97]
	v_add_f64 v[96:97], v[32:33], v[112:113]
	v_add_f64 v[120:121], v[120:121], v[100:101]
	v_add_f64 v[100:101], v[96:97], v[116:117]
	v_add_f64 v[96:97], v[112:113], v[116:117]
	v_fmac_f64_e32 v[32:33], -0.5, v[96:97]
	v_add_f64 v[98:99], v[114:115], -v[118:119]
	v_fma_f64 v[96:97], s[4:5], v[98:99], v[32:33]
	v_fmac_f64_e32 v[32:33], s[2:3], v[98:99]
	v_add_f64 v[98:99], v[34:35], v[114:115]
	v_add_f64 v[122:123], v[122:123], v[102:103]
	;; [unrolled: 8-line block ×3, first 2 shown]
	v_add_f64 v[112:113], v[88:89], v[92:93]
	v_fmac_f64_e32 v[28:29], -0.5, v[112:113]
	v_add_f64 v[114:115], v[90:91], -v[94:95]
	v_fma_f64 v[112:113], s[4:5], v[114:115], v[28:29]
	v_fmac_f64_e32 v[28:29], s[2:3], v[114:115]
	v_add_f64 v[114:115], v[30:31], v[90:91]
	v_add_f64 v[90:91], v[90:91], v[94:95]
	v_fmac_f64_e32 v[30:31], -0.5, v[90:91]
	v_add_f64 v[88:89], v[88:89], -v[92:93]
	v_add_f64 v[90:91], v[104:105], v[108:109]
	v_add_f64 v[118:119], v[114:115], v[94:95]
	v_fma_f64 v[114:115], s[2:3], v[88:89], v[30:31]
	v_fmac_f64_e32 v[30:31], s[4:5], v[88:89]
	v_add_f64 v[88:89], v[24:25], v[104:105]
	v_fmac_f64_e32 v[24:25], -0.5, v[90:91]
	v_add_f64 v[90:91], v[106:107], -v[110:111]
	v_add_f64 v[94:95], v[106:107], v[110:111]
	v_fma_f64 v[92:93], s[4:5], v[90:91], v[24:25]
	v_fmac_f64_e32 v[24:25], s[2:3], v[90:91]
	v_add_f64 v[90:91], v[26:27], v[106:107]
	v_fmac_f64_e32 v[26:27], -0.5, v[94:95]
	v_add_f64 v[104:105], v[104:105], -v[108:109]
	v_fma_f64 v[94:95], s[2:3], v[104:105], v[26:27]
	v_fmac_f64_e32 v[26:27], s[4:5], v[104:105]
	v_add_f64 v[104:105], v[20:21], v[80:81]
	v_add_f64 v[88:89], v[88:89], v[108:109]
	;; [unrolled: 1-line block ×4, first 2 shown]
	v_fmac_f64_e32 v[20:21], -0.5, v[104:105]
	v_add_f64 v[106:107], v[82:83], -v[86:87]
	v_fma_f64 v[104:105], s[4:5], v[106:107], v[20:21]
	v_fmac_f64_e32 v[20:21], s[2:3], v[106:107]
	v_add_f64 v[106:107], v[22:23], v[82:83]
	v_add_f64 v[82:83], v[82:83], v[86:87]
	v_fmac_f64_e32 v[22:23], -0.5, v[82:83]
	v_add_f64 v[80:81], v[80:81], -v[84:85]
	v_add_f64 v[90:91], v[90:91], v[110:111]
	v_add_f64 v[110:111], v[106:107], v[86:87]
	v_fma_f64 v[106:107], s[2:3], v[80:81], v[22:23]
	v_fmac_f64_e32 v[22:23], s[4:5], v[80:81]
	s_waitcnt lgkmcnt(13)
	v_add_f64 v[80:81], v[16:17], v[72:73]
	s_waitcnt lgkmcnt(12)
	v_add_f64 v[84:85], v[80:81], v[76:77]
	v_add_f64 v[80:81], v[72:73], v[76:77]
	v_fmac_f64_e32 v[16:17], -0.5, v[80:81]
	v_add_f64 v[82:83], v[74:75], -v[78:79]
	v_fma_f64 v[80:81], s[4:5], v[82:83], v[16:17]
	v_fmac_f64_e32 v[16:17], s[2:3], v[82:83]
	v_add_f64 v[82:83], v[18:19], v[74:75]
	v_add_f64 v[74:75], v[74:75], v[78:79]
	v_fmac_f64_e32 v[18:19], -0.5, v[74:75]
	v_add_f64 v[72:73], v[72:73], -v[76:77]
	v_add_f64 v[86:87], v[82:83], v[78:79]
	v_fma_f64 v[82:83], s[2:3], v[72:73], v[18:19]
	v_fmac_f64_e32 v[18:19], s[4:5], v[72:73]
	s_waitcnt lgkmcnt(10)
	v_add_f64 v[72:73], v[12:13], v[64:65]
	s_waitcnt lgkmcnt(9)
	v_add_f64 v[76:77], v[72:73], v[68:69]
	v_add_f64 v[72:73], v[64:65], v[68:69]
	v_fmac_f64_e32 v[12:13], -0.5, v[72:73]
	v_add_f64 v[74:75], v[66:67], -v[70:71]
	v_fma_f64 v[72:73], s[4:5], v[74:75], v[12:13]
	v_fmac_f64_e32 v[12:13], s[2:3], v[74:75]
	v_add_f64 v[74:75], v[14:15], v[66:67]
	v_add_f64 v[66:67], v[66:67], v[70:71]
	v_fmac_f64_e32 v[14:15], -0.5, v[66:67]
	v_add_f64 v[64:65], v[64:65], -v[68:69]
	;; [unrolled: 16-line block ×5, first 2 shown]
	v_add_f64 v[54:55], v[50:51], v[46:47]
	v_fma_f64 v[50:51], s[2:3], v[40:41], v[2:3]
	v_fmac_f64_e32 v[2:3], s[4:5], v[40:41]
	s_barrier
	buffer_load_dword v40, off, s[36:39], 0 offset:8 ; 4-byte Folded Reload
	s_waitcnt vmcnt(0)
	ds_write_b128 v40, v[120:123]
	ds_write_b128 v40, v[124:127] offset:16
	ds_write_b128 v40, v[36:39] offset:32
	buffer_load_dword v36, off, s[36:39], 0 offset:28 ; 4-byte Folded Reload
	s_waitcnt vmcnt(0)
	ds_write_b128 v36, v[100:103]
	ds_write_b128 v36, v[96:99] offset:16
	ds_write_b128 v36, v[32:35] offset:32
	buffer_load_dword v32, off, s[36:39], 0 offset:24 ; 4-byte Folded Reload
	s_waitcnt vmcnt(0)
	ds_write_b128 v32, v[116:119]
	ds_write_b128 v32, v[112:115] offset:16
	ds_write_b128 v32, v[28:31] offset:32
	buffer_load_dword v28, off, s[36:39], 0 offset:548 ; 4-byte Folded Reload
	s_waitcnt vmcnt(0)
	ds_write_b128 v28, v[88:91]
	ds_write_b128 v28, v[92:95] offset:16
	ds_write_b128 v28, v[24:27] offset:32
	buffer_load_dword v24, off, s[36:39], 0 offset:544 ; 4-byte Folded Reload
	s_waitcnt vmcnt(0)
	ds_write_b128 v24, v[108:111]
	ds_write_b128 v24, v[104:107] offset:16
	ds_write_b128 v24, v[20:23] offset:32
	buffer_load_dword v20, off, s[36:39], 0 offset:20 ; 4-byte Folded Reload
	s_waitcnt vmcnt(0)
	ds_write_b128 v20, v[84:87]
	ds_write_b128 v20, v[80:83] offset:16
	ds_write_b128 v20, v[16:19] offset:32
	buffer_load_dword v16, off, s[36:39], 0 offset:16 ; 4-byte Folded Reload
	s_waitcnt vmcnt(0)
	ds_write_b128 v16, v[76:79]
	ds_write_b128 v16, v[72:75] offset:16
	ds_write_b128 v16, v[12:15] offset:32
	buffer_load_dword v12, off, s[36:39], 0 offset:12 ; 4-byte Folded Reload
	s_waitcnt vmcnt(0)
	ds_write_b128 v12, v[68:71]
	ds_write_b128 v12, v[64:67] offset:16
	ds_write_b128 v12, v[8:11] offset:32
	buffer_load_dword v8, off, s[36:39], 0 offset:4 ; 4-byte Folded Reload
	s_waitcnt vmcnt(0)
	ds_write_b128 v8, v[60:63]
	ds_write_b128 v8, v[56:59] offset:16
	ds_write_b128 v8, v[4:7] offset:32
	buffer_load_dword v4, off, s[36:39], 0  ; 4-byte Folded Reload
	s_waitcnt vmcnt(0)
	ds_write_b128 v4, v[52:55]
	ds_write_b128 v4, v[48:51] offset:16
	ds_write_b128 v4, v[0:3] offset:32
	s_waitcnt lgkmcnt(0)
	s_barrier
	ds_read_b128 v[8:11], v185
	ds_read_b128 v[116:119], v185 offset:4320
	ds_read_b128 v[112:115], v185 offset:8640
	;; [unrolled: 1-line block ×29, first 2 shown]
	buffer_load_dword v120, off, s[36:39], 0 offset:576 ; 4-byte Folded Reload
	buffer_load_dword v121, off, s[36:39], 0 offset:580 ; 4-byte Folded Reload
	buffer_load_dword v122, off, s[36:39], 0 offset:584 ; 4-byte Folded Reload
	buffer_load_dword v123, off, s[36:39], 0 offset:588 ; 4-byte Folded Reload
	s_waitcnt vmcnt(0) lgkmcnt(14)
	v_mul_f64 v[40:41], v[122:123], v[118:119]
	v_mul_f64 v[12:13], v[122:123], v[116:117]
	v_fmac_f64_e32 v[40:41], v[120:121], v[116:117]
	v_fma_f64 v[42:43], v[120:121], v[118:119], -v[12:13]
	buffer_load_dword v118, off, s[36:39], 0 offset:560 ; 4-byte Folded Reload
	buffer_load_dword v119, off, s[36:39], 0 offset:564 ; 4-byte Folded Reload
	buffer_load_dword v120, off, s[36:39], 0 offset:568 ; 4-byte Folded Reload
	buffer_load_dword v121, off, s[36:39], 0 offset:572 ; 4-byte Folded Reload
	s_waitcnt vmcnt(0)
	v_mul_f64 v[116:117], v[120:121], v[114:115]
	v_mul_f64 v[12:13], v[120:121], v[112:113]
	v_fmac_f64_e32 v[116:117], v[118:119], v[112:113]
	v_fma_f64 v[114:115], v[118:119], v[114:115], -v[12:13]
	buffer_load_dword v118, off, s[36:39], 0 offset:528 ; 4-byte Folded Reload
	buffer_load_dword v119, off, s[36:39], 0 offset:532 ; 4-byte Folded Reload
	buffer_load_dword v120, off, s[36:39], 0 offset:536 ; 4-byte Folded Reload
	buffer_load_dword v121, off, s[36:39], 0 offset:540 ; 4-byte Folded Reload
	s_waitcnt vmcnt(0)
	;; [unrolled: 9-line block ×7, first 2 shown]
	v_mul_f64 v[134:135], v[120:121], v[90:91]
	v_mul_f64 v[12:13], v[120:121], v[88:89]
	v_fmac_f64_e32 v[134:135], v[118:119], v[88:89]
	v_fma_f64 v[94:95], v[118:119], v[90:91], -v[12:13]
	v_accvgpr_read_b32 v118, a168
	v_accvgpr_read_b32 v120, a170
	v_accvgpr_read_b32 v121, a171
	v_accvgpr_read_b32 v119, a169
	v_mul_f64 v[90:91], v[120:121], v[86:87]
	v_mul_f64 v[12:13], v[120:121], v[84:85]
	v_fmac_f64_e32 v[90:91], v[118:119], v[84:85]
	v_fma_f64 v[84:85], v[118:119], v[86:87], -v[12:13]
	v_accvgpr_read_b32 v86, a236
	v_accvgpr_read_b32 v88, a238
	v_accvgpr_read_b32 v89, a239
	v_accvgpr_read_b32 v87, a237
	;; [unrolled: 8-line block ×7, first 2 shown]
	s_waitcnt lgkmcnt(13)
	v_mul_f64 v[66:67], v[88:89], v[62:63]
	v_mul_f64 v[14:15], v[88:89], v[60:61]
	v_fmac_f64_e32 v[66:67], v[86:87], v[60:61]
	v_fma_f64 v[62:63], v[86:87], v[62:63], -v[14:15]
	v_accvgpr_read_b32 v86, a188
	v_accvgpr_read_b32 v88, a190
	v_accvgpr_read_b32 v89, a191
	v_accvgpr_read_b32 v87, a189
	s_waitcnt lgkmcnt(12)
	v_mul_f64 v[60:61], v[88:89], v[58:59]
	v_mul_f64 v[14:15], v[88:89], v[56:57]
	v_fmac_f64_e32 v[60:61], v[86:87], v[56:57]
	v_fma_f64 v[56:57], v[86:87], v[58:59], -v[14:15]
	v_accvgpr_read_b32 v86, a176
	v_accvgpr_read_b32 v88, a178
	v_accvgpr_read_b32 v89, a179
	v_accvgpr_read_b32 v87, a177
	;; [unrolled: 9-line block ×11, first 2 shown]
	s_waitcnt lgkmcnt(1)
	v_mul_f64 v[22:23], v[88:89], v[18:19]
	v_mul_f64 v[14:15], v[88:89], v[16:17]
	v_fmac_f64_e32 v[22:23], v[86:87], v[16:17]
	v_fma_f64 v[18:19], v[86:87], v[18:19], -v[14:15]
	buffer_load_dword v86, off, s[36:39], 0 offset:656 ; 4-byte Folded Reload
	buffer_load_dword v87, off, s[36:39], 0 offset:660 ; 4-byte Folded Reload
	;; [unrolled: 1-line block ×4, first 2 shown]
	v_add_f64 v[46:47], v[8:9], v[116:117]
	v_add_f64 v[46:47], v[46:47], v[110:111]
	;; [unrolled: 1-line block ×5, first 2 shown]
	v_fma_f64 v[46:47], -0.5, v[46:47], v[8:9]
	v_add_f64 v[132:133], v[102:103], -v[134:135]
	s_waitcnt lgkmcnt(0)
	s_barrier
	s_waitcnt vmcnt(0)
	v_mul_f64 v[16:17], v[88:89], v[130:131]
	v_mul_f64 v[14:15], v[88:89], v[128:129]
	v_add_f64 v[88:89], v[114:115], -v[94:95]
	v_fmac_f64_e32 v[16:17], v[86:87], v[128:129]
	v_fma_f64 v[14:15], v[86:87], v[130:131], -v[14:15]
	v_fma_f64 v[82:83], s[18:19], v[88:89], v[46:47]
	v_add_f64 v[128:129], v[106:107], -v[98:99]
	v_add_f64 v[86:87], v[116:117], -v[110:111]
	;; [unrolled: 1-line block ×3, first 2 shown]
	v_fmac_f64_e32 v[46:47], s[8:9], v[88:89]
	v_fmac_f64_e32 v[82:83], s[16:17], v[128:129]
	v_add_f64 v[86:87], v[86:87], v[130:131]
	v_fmac_f64_e32 v[46:47], s[6:7], v[128:129]
	v_fmac_f64_e32 v[82:83], s[14:15], v[86:87]
	;; [unrolled: 1-line block ×3, first 2 shown]
	v_add_f64 v[86:87], v[116:117], v[134:135]
	v_fmac_f64_e32 v[8:9], -0.5, v[86:87]
	v_fma_f64 v[86:87], s[8:9], v[128:129], v[8:9]
	v_add_f64 v[130:131], v[110:111], -v[116:117]
	v_fmac_f64_e32 v[8:9], s[18:19], v[128:129]
	v_add_f64 v[128:129], v[106:107], v[98:99]
	v_add_f64 v[130:131], v[130:131], v[132:133]
	v_fma_f64 v[132:133], -0.5, v[128:129], v[10:11]
	v_add_f64 v[116:117], v[116:117], -v[134:135]
	v_fmac_f64_e32 v[86:87], s[16:17], v[88:89]
	v_fmac_f64_e32 v[8:9], s[6:7], v[88:89]
	v_add_f64 v[88:89], v[10:11], v[114:115]
	v_fma_f64 v[134:135], s[8:9], v[116:117], v[132:133]
	v_add_f64 v[102:103], v[110:111], -v[102:103]
	v_add_f64 v[110:111], v[114:115], -v[106:107]
	;; [unrolled: 1-line block ×3, first 2 shown]
	v_fmac_f64_e32 v[132:133], s[18:19], v[116:117]
	v_add_f64 v[88:89], v[88:89], v[106:107]
	v_fmac_f64_e32 v[134:135], s[6:7], v[102:103]
	v_add_f64 v[110:111], v[110:111], v[128:129]
	;; [unrolled: 2-line block ×3, first 2 shown]
	v_fmac_f64_e32 v[134:135], s[14:15], v[110:111]
	v_fmac_f64_e32 v[132:133], s[14:15], v[110:111]
	v_add_f64 v[110:111], v[114:115], v[94:95]
	v_add_f64 v[88:89], v[88:89], v[94:95]
	v_fmac_f64_e32 v[10:11], -0.5, v[110:111]
	v_add_f64 v[94:95], v[98:99], -v[94:95]
	v_add_f64 v[98:99], v[104:105], v[96:97]
	v_fma_f64 v[136:137], s[18:19], v[102:103], v[10:11]
	v_add_f64 v[106:107], v[106:107], -v[114:115]
	v_fmac_f64_e32 v[10:11], s[8:9], v[102:103]
	v_fma_f64 v[98:99], -0.5, v[98:99], v[40:41]
	v_add_f64 v[102:103], v[108:109], -v[84:85]
	v_fmac_f64_e32 v[136:137], s[6:7], v[116:117]
	v_add_f64 v[94:95], v[106:107], v[94:95]
	v_fmac_f64_e32 v[10:11], s[16:17], v[116:117]
	v_fma_f64 v[116:117], s[18:19], v[102:103], v[98:99]
	v_add_f64 v[106:107], v[100:101], -v[92:93]
	v_add_f64 v[110:111], v[112:113], -v[104:105]
	;; [unrolled: 1-line block ×3, first 2 shown]
	v_fmac_f64_e32 v[98:99], s[8:9], v[102:103]
	v_fmac_f64_e32 v[116:117], s[16:17], v[106:107]
	v_add_f64 v[110:111], v[110:111], v[114:115]
	v_fmac_f64_e32 v[98:99], s[6:7], v[106:107]
	v_fmac_f64_e32 v[116:117], s[14:15], v[110:111]
	;; [unrolled: 1-line block ×3, first 2 shown]
	v_add_f64 v[110:111], v[112:113], v[90:91]
	v_fmac_f64_e32 v[136:137], s[14:15], v[94:95]
	v_fmac_f64_e32 v[10:11], s[14:15], v[94:95]
	v_add_f64 v[94:95], v[40:41], v[112:113]
	v_fmac_f64_e32 v[40:41], -0.5, v[110:111]
	v_fmac_f64_e32 v[86:87], s[14:15], v[130:131]
	v_fmac_f64_e32 v[8:9], s[14:15], v[130:131]
	v_fma_f64 v[130:131], s[8:9], v[106:107], v[40:41]
	v_fmac_f64_e32 v[40:41], s[18:19], v[106:107]
	v_fmac_f64_e32 v[130:131], s[16:17], v[102:103]
	;; [unrolled: 1-line block ×3, first 2 shown]
	v_add_f64 v[102:103], v[42:43], v[108:109]
	v_add_f64 v[102:103], v[102:103], v[100:101]
	;; [unrolled: 1-line block ×8, first 2 shown]
	v_add_f64 v[114:115], v[96:97], -v[90:91]
	v_fma_f64 v[140:141], -0.5, v[102:103], v[42:43]
	v_add_f64 v[90:91], v[112:113], -v[90:91]
	v_add_f64 v[110:111], v[104:105], -v[112:113]
	v_fma_f64 v[142:143], s[8:9], v[90:91], v[140:141]
	v_add_f64 v[96:97], v[104:105], -v[96:97]
	v_add_f64 v[102:103], v[108:109], -v[100:101]
	;; [unrolled: 1-line block ×3, first 2 shown]
	v_fmac_f64_e32 v[140:141], s[18:19], v[90:91]
	v_fmac_f64_e32 v[142:143], s[6:7], v[96:97]
	v_add_f64 v[102:103], v[102:103], v[104:105]
	v_fmac_f64_e32 v[140:141], s[16:17], v[96:97]
	v_fmac_f64_e32 v[142:143], s[14:15], v[102:103]
	;; [unrolled: 1-line block ×3, first 2 shown]
	v_add_f64 v[102:103], v[108:109], v[84:85]
	v_fmac_f64_e32 v[42:43], -0.5, v[102:103]
	v_fma_f64 v[104:105], s[18:19], v[96:97], v[42:43]
	v_add_f64 v[100:101], v[100:101], -v[108:109]
	v_add_f64 v[84:85], v[92:93], -v[84:85]
	v_fmac_f64_e32 v[42:43], s[8:9], v[96:97]
	v_add_f64 v[84:85], v[100:101], v[84:85]
	v_fmac_f64_e32 v[42:43], s[16:17], v[90:91]
	v_add_f64 v[110:111], v[110:111], v[114:115]
	v_fmac_f64_e32 v[104:105], s[6:7], v[90:91]
	v_fmac_f64_e32 v[42:43], s[14:15], v[84:85]
	;; [unrolled: 1-line block ×4, first 2 shown]
	v_mul_f64 v[84:85], v[142:143], s[16:17]
	v_mul_f64 v[96:97], v[42:43], s[18:19]
	v_fmac_f64_e32 v[84:85], s[24:25], v[116:117]
	v_fmac_f64_e32 v[96:97], s[22:23], v[40:41]
	;; [unrolled: 1-line block ×3, first 2 shown]
	v_add_f64 v[110:111], v[50:51], v[94:95]
	v_add_f64 v[114:115], v[82:83], v[84:85]
	;; [unrolled: 1-line block ×3, first 2 shown]
	v_add_f64 v[90:91], v[50:51], -v[94:95]
	v_add_f64 v[94:95], v[82:83], -v[84:85]
	;; [unrolled: 1-line block ×3, first 2 shown]
	v_add_f64 v[8:9], v[4:5], v[80:81]
	v_mul_f64 v[42:43], v[42:43], s[22:23]
	v_add_f64 v[8:9], v[8:9], v[74:75]
	v_fmac_f64_e32 v[42:43], s[8:9], v[40:41]
	v_add_f64 v[8:9], v[8:9], v[66:67]
	v_mul_f64 v[92:93], v[104:105], s[18:19]
	v_mul_f64 v[100:101], v[140:141], s[16:17]
	;; [unrolled: 1-line block ×3, first 2 shown]
	v_add_f64 v[104:105], v[10:11], v[42:43]
	v_mul_f64 v[40:41], v[140:141], s[20:21]
	v_add_f64 v[84:85], v[10:11], -v[42:43]
	v_add_f64 v[10:11], v[8:9], v[58:59]
	v_add_f64 v[8:9], v[74:75], v[66:67]
	v_fmac_f64_e32 v[92:93], s[14:15], v[130:131]
	v_fmac_f64_e32 v[100:101], s[20:21], v[98:99]
	;; [unrolled: 1-line block ×3, first 2 shown]
	v_fma_f64 v[8:9], -0.5, v[8:9], v[4:5]
	v_add_f64 v[42:43], v[78:79], -v[54:55]
	v_add_f64 v[128:129], v[86:87], v[92:93]
	v_add_f64 v[106:107], v[46:47], v[100:101]
	v_add_f64 v[112:113], v[88:89], v[138:139]
	v_add_f64 v[108:109], v[132:133], v[40:41]
	v_add_f64 v[98:99], v[86:87], -v[92:93]
	v_add_f64 v[86:87], v[46:47], -v[100:101]
	;; [unrolled: 1-line block ×4, first 2 shown]
	v_fma_f64 v[40:41], s[18:19], v[42:43], v[8:9]
	v_add_f64 v[50:51], v[70:71], -v[62:63]
	v_add_f64 v[46:47], v[80:81], -v[74:75]
	;; [unrolled: 1-line block ×3, first 2 shown]
	v_fmac_f64_e32 v[8:9], s[8:9], v[42:43]
	v_fmac_f64_e32 v[40:41], s[16:17], v[50:51]
	v_add_f64 v[46:47], v[46:47], v[132:133]
	v_fmac_f64_e32 v[8:9], s[6:7], v[50:51]
	v_mul_f64 v[142:143], v[142:143], s[24:25]
	v_fmac_f64_e32 v[40:41], s[14:15], v[46:47]
	v_fmac_f64_e32 v[8:9], s[14:15], v[46:47]
	v_add_f64 v[46:47], v[80:81], v[58:59]
	v_fmac_f64_e32 v[142:143], s[6:7], v[116:117]
	v_fmac_f64_e32 v[4:5], -0.5, v[46:47]
	v_add_f64 v[116:117], v[134:135], v[142:143]
	v_add_f64 v[96:97], v[134:135], -v[142:143]
	v_fma_f64 v[46:47], s[8:9], v[50:51], v[4:5]
	v_add_f64 v[132:133], v[74:75], -v[80:81]
	v_add_f64 v[134:135], v[66:67], -v[58:59]
	v_fmac_f64_e32 v[4:5], s[18:19], v[50:51]
	v_fmac_f64_e32 v[46:47], s[16:17], v[42:43]
	v_add_f64 v[132:133], v[132:133], v[134:135]
	v_fmac_f64_e32 v[4:5], s[6:7], v[42:43]
	v_add_f64 v[50:51], v[70:71], v[62:63]
	v_fmac_f64_e32 v[46:47], s[14:15], v[132:133]
	v_fmac_f64_e32 v[4:5], s[14:15], v[132:133]
	v_fma_f64 v[132:133], -0.5, v[50:51], v[6:7]
	v_add_f64 v[50:51], v[80:81], -v[58:59]
	v_fma_f64 v[134:135], s[8:9], v[50:51], v[132:133]
	v_add_f64 v[58:59], v[74:75], -v[66:67]
	v_add_f64 v[66:67], v[78:79], -v[70:71]
	;; [unrolled: 1-line block ×3, first 2 shown]
	v_fmac_f64_e32 v[132:133], s[18:19], v[50:51]
	v_add_f64 v[42:43], v[6:7], v[78:79]
	v_fmac_f64_e32 v[134:135], s[6:7], v[58:59]
	v_add_f64 v[66:67], v[66:67], v[74:75]
	;; [unrolled: 2-line block ×3, first 2 shown]
	v_fmac_f64_e32 v[134:135], s[14:15], v[66:67]
	v_fmac_f64_e32 v[132:133], s[14:15], v[66:67]
	v_add_f64 v[66:67], v[78:79], v[54:55]
	v_fmac_f64_e32 v[144:145], s[8:9], v[130:131]
	v_add_f64 v[42:43], v[42:43], v[62:63]
	v_fmac_f64_e32 v[6:7], -0.5, v[66:67]
	v_add_f64 v[130:131], v[136:137], v[144:145]
	v_add_f64 v[100:101], v[136:137], -v[144:145]
	v_add_f64 v[42:43], v[42:43], v[54:55]
	v_fma_f64 v[136:137], s[18:19], v[58:59], v[6:7]
	v_add_f64 v[66:67], v[70:71], -v[78:79]
	v_add_f64 v[54:55], v[62:63], -v[54:55]
	v_fmac_f64_e32 v[6:7], s[8:9], v[58:59]
	v_fmac_f64_e32 v[136:137], s[6:7], v[50:51]
	v_add_f64 v[54:55], v[66:67], v[54:55]
	v_fmac_f64_e32 v[6:7], s[16:17], v[50:51]
	v_fmac_f64_e32 v[136:137], s[14:15], v[54:55]
	;; [unrolled: 1-line block ×3, first 2 shown]
	v_add_f64 v[54:55], v[68:69], v[60:61]
	v_fma_f64 v[54:55], -0.5, v[54:55], v[118:119]
	v_add_f64 v[58:59], v[72:73], -v[48:49]
	v_fma_f64 v[80:81], s[18:19], v[58:59], v[54:55]
	v_add_f64 v[62:63], v[64:65], -v[56:57]
	v_add_f64 v[66:67], v[76:77], -v[68:69]
	;; [unrolled: 1-line block ×3, first 2 shown]
	v_fmac_f64_e32 v[54:55], s[8:9], v[58:59]
	v_fmac_f64_e32 v[80:81], s[16:17], v[62:63]
	v_add_f64 v[66:67], v[66:67], v[70:71]
	v_fmac_f64_e32 v[54:55], s[6:7], v[62:63]
	v_fmac_f64_e32 v[80:81], s[14:15], v[66:67]
	;; [unrolled: 1-line block ×3, first 2 shown]
	v_add_f64 v[66:67], v[76:77], v[52:53]
	v_add_f64 v[50:51], v[118:119], v[76:77]
	v_fmac_f64_e32 v[118:119], -0.5, v[66:67]
	v_fma_f64 v[138:139], s[8:9], v[62:63], v[118:119]
	v_fmac_f64_e32 v[118:119], s[18:19], v[62:63]
	v_fmac_f64_e32 v[138:139], s[16:17], v[58:59]
	;; [unrolled: 1-line block ×3, first 2 shown]
	v_add_f64 v[58:59], v[12:13], v[72:73]
	v_add_f64 v[58:59], v[58:59], v[64:65]
	v_add_f64 v[50:51], v[50:51], v[68:69]
	v_add_f64 v[58:59], v[58:59], v[56:57]
	v_add_f64 v[50:51], v[50:51], v[60:61]
	v_add_f64 v[66:67], v[68:69], -v[76:77]
	v_add_f64 v[70:71], v[60:61], -v[52:53]
	v_add_f64 v[140:141], v[58:59], v[48:49]
	v_add_f64 v[58:59], v[64:65], v[56:57]
	;; [unrolled: 1-line block ×4, first 2 shown]
	v_fma_f64 v[58:59], -0.5, v[58:59], v[12:13]
	v_add_f64 v[52:53], v[76:77], -v[52:53]
	v_fmac_f64_e32 v[138:139], s[14:15], v[66:67]
	v_fmac_f64_e32 v[118:119], s[14:15], v[66:67]
	v_fma_f64 v[76:77], s[8:9], v[52:53], v[58:59]
	v_add_f64 v[60:61], v[68:69], -v[60:61]
	v_add_f64 v[62:63], v[72:73], -v[64:65]
	;; [unrolled: 1-line block ×3, first 2 shown]
	v_fmac_f64_e32 v[58:59], s[18:19], v[52:53]
	v_fmac_f64_e32 v[76:77], s[6:7], v[60:61]
	v_add_f64 v[62:63], v[62:63], v[66:67]
	v_fmac_f64_e32 v[58:59], s[16:17], v[60:61]
	v_fmac_f64_e32 v[76:77], s[14:15], v[62:63]
	;; [unrolled: 1-line block ×3, first 2 shown]
	v_add_f64 v[62:63], v[72:73], v[48:49]
	v_fmac_f64_e32 v[12:13], -0.5, v[62:63]
	v_fma_f64 v[68:69], s[18:19], v[60:61], v[12:13]
	v_add_f64 v[62:63], v[64:65], -v[72:73]
	v_add_f64 v[48:49], v[56:57], -v[48:49]
	v_fmac_f64_e32 v[12:13], s[8:9], v[60:61]
	v_fmac_f64_e32 v[68:69], s[6:7], v[52:53]
	v_add_f64 v[48:49], v[62:63], v[48:49]
	v_fmac_f64_e32 v[12:13], s[16:17], v[52:53]
	v_fmac_f64_e32 v[68:69], s[14:15], v[48:49]
	;; [unrolled: 1-line block ×3, first 2 shown]
	v_mul_f64 v[52:53], v[68:69], s[18:19]
	v_mul_f64 v[56:57], v[12:13], s[18:19]
	;; [unrolled: 1-line block ×3, first 2 shown]
	v_fmac_f64_e32 v[52:53], s[14:15], v[138:139]
	v_mul_f64 v[60:61], v[58:59], s[16:17]
	v_fmac_f64_e32 v[12:13], s[8:9], v[118:119]
	v_mul_f64 v[48:49], v[76:77], s[16:17]
	v_add_f64 v[78:79], v[46:47], v[52:53]
	v_fmac_f64_e32 v[56:57], s[22:23], v[118:119]
	v_fmac_f64_e32 v[60:61], s[20:21], v[54:55]
	v_add_f64 v[72:73], v[42:43], v[140:141]
	v_add_f64 v[64:65], v[6:7], v[12:13]
	v_mul_f64 v[118:119], v[58:59], s[20:21]
	v_add_f64 v[58:59], v[46:47], -v[52:53]
	v_add_f64 v[52:53], v[42:43], -v[140:141]
	;; [unrolled: 1-line block ×3, first 2 shown]
	v_add_f64 v[6:7], v[38:39], v[30:31]
	v_fmac_f64_e32 v[48:49], s[24:25], v[80:81]
	v_add_f64 v[66:67], v[8:9], v[60:61]
	v_fmac_f64_e32 v[118:119], s[6:7], v[54:55]
	v_add_f64 v[46:47], v[8:9], -v[60:61]
	v_fma_f64 v[6:7], -0.5, v[6:7], v[0:1]
	v_add_f64 v[8:9], v[126:127], -v[18:19]
	v_add_f64 v[70:71], v[10:11], v[50:51]
	v_add_f64 v[74:75], v[40:41], v[48:49]
	v_mul_f64 v[144:145], v[68:69], s[14:15]
	v_add_f64 v[68:69], v[132:133], v[118:119]
	v_add_f64 v[50:51], v[10:11], -v[50:51]
	v_add_f64 v[54:55], v[40:41], -v[48:49]
	;; [unrolled: 1-line block ×3, first 2 shown]
	v_fma_f64 v[10:11], s[18:19], v[8:9], v[6:7]
	v_add_f64 v[12:13], v[34:35], -v[26:27]
	v_add_f64 v[118:119], v[44:45], -v[38:39]
	;; [unrolled: 1-line block ×3, first 2 shown]
	v_fmac_f64_e32 v[6:7], s[8:9], v[8:9]
	v_fmac_f64_e32 v[10:11], s[16:17], v[12:13]
	v_add_f64 v[118:119], v[118:119], v[132:133]
	v_fmac_f64_e32 v[6:7], s[6:7], v[12:13]
	v_mul_f64 v[142:143], v[76:77], s[24:25]
	v_fmac_f64_e32 v[10:11], s[14:15], v[118:119]
	v_fmac_f64_e32 v[6:7], s[14:15], v[118:119]
	v_add_f64 v[118:119], v[44:45], v[22:23]
	v_add_f64 v[62:63], v[4:5], v[56:57]
	v_fmac_f64_e32 v[142:143], s[6:7], v[80:81]
	v_add_f64 v[40:41], v[4:5], -v[56:57]
	v_add_f64 v[4:5], v[0:1], v[44:45]
	v_fmac_f64_e32 v[0:1], -0.5, v[118:119]
	v_add_f64 v[76:77], v[134:135], v[142:143]
	v_add_f64 v[56:57], v[134:135], -v[142:143]
	v_fma_f64 v[134:135], s[8:9], v[12:13], v[0:1]
	v_fmac_f64_e32 v[0:1], s[18:19], v[12:13]
	v_fmac_f64_e32 v[134:135], s[16:17], v[8:9]
	;; [unrolled: 1-line block ×3, first 2 shown]
	v_add_f64 v[8:9], v[2:3], v[126:127]
	v_add_f64 v[118:119], v[38:39], -v[44:45]
	v_add_f64 v[132:133], v[30:31], -v[22:23]
	v_add_f64 v[8:9], v[8:9], v[34:35]
	v_add_f64 v[118:119], v[118:119], v[132:133]
	;; [unrolled: 1-line block ×4, first 2 shown]
	v_fmac_f64_e32 v[134:135], s[14:15], v[118:119]
	v_fmac_f64_e32 v[0:1], s[14:15], v[118:119]
	v_add_f64 v[118:119], v[8:9], v[18:19]
	v_add_f64 v[8:9], v[34:35], v[26:27]
	;; [unrolled: 1-line block ×3, first 2 shown]
	v_fma_f64 v[132:133], -0.5, v[8:9], v[2:3]
	v_add_f64 v[8:9], v[44:45], -v[22:23]
	v_add_f64 v[4:5], v[4:5], v[22:23]
	v_fma_f64 v[44:45], s[8:9], v[8:9], v[132:133]
	v_add_f64 v[12:13], v[38:39], -v[30:31]
	v_add_f64 v[22:23], v[126:127], -v[34:35]
	;; [unrolled: 1-line block ×3, first 2 shown]
	v_fmac_f64_e32 v[132:133], s[18:19], v[8:9]
	v_fmac_f64_e32 v[44:45], s[6:7], v[12:13]
	v_add_f64 v[22:23], v[22:23], v[30:31]
	v_fmac_f64_e32 v[132:133], s[16:17], v[12:13]
	v_fmac_f64_e32 v[44:45], s[14:15], v[22:23]
	;; [unrolled: 1-line block ×3, first 2 shown]
	v_add_f64 v[22:23], v[126:127], v[18:19]
	v_fmac_f64_e32 v[144:145], s[8:9], v[138:139]
	v_fmac_f64_e32 v[2:3], -0.5, v[22:23]
	v_add_f64 v[80:81], v[136:137], v[144:145]
	v_add_f64 v[60:61], v[136:137], -v[144:145]
	v_fma_f64 v[136:137], s[18:19], v[12:13], v[2:3]
	v_add_f64 v[22:23], v[34:35], -v[126:127]
	v_add_f64 v[18:19], v[26:27], -v[18:19]
	v_fmac_f64_e32 v[2:3], s[8:9], v[12:13]
	v_fmac_f64_e32 v[136:137], s[6:7], v[8:9]
	v_add_f64 v[18:19], v[22:23], v[18:19]
	v_fmac_f64_e32 v[2:3], s[16:17], v[8:9]
	v_add_f64 v[12:13], v[32:33], v[24:25]
	v_fmac_f64_e32 v[136:137], s[14:15], v[18:19]
	v_fmac_f64_e32 v[2:3], s[14:15], v[18:19]
	v_fma_f64 v[12:13], -0.5, v[12:13], v[120:121]
	v_add_f64 v[18:19], v[36:37], -v[14:15]
	v_fma_f64 v[22:23], s[18:19], v[18:19], v[12:13]
	v_add_f64 v[26:27], v[28:29], -v[20:21]
	v_add_f64 v[30:31], v[124:125], -v[32:33]
	;; [unrolled: 1-line block ×3, first 2 shown]
	v_fmac_f64_e32 v[12:13], s[8:9], v[18:19]
	v_fmac_f64_e32 v[22:23], s[16:17], v[26:27]
	v_add_f64 v[30:31], v[30:31], v[34:35]
	v_fmac_f64_e32 v[12:13], s[6:7], v[26:27]
	v_add_f64 v[8:9], v[120:121], v[124:125]
	v_fmac_f64_e32 v[22:23], s[14:15], v[30:31]
	v_fmac_f64_e32 v[12:13], s[14:15], v[30:31]
	v_add_f64 v[30:31], v[124:125], v[16:17]
	v_add_f64 v[8:9], v[8:9], v[32:33]
	v_fmac_f64_e32 v[120:121], -0.5, v[30:31]
	v_add_f64 v[8:9], v[8:9], v[24:25]
	v_fma_f64 v[38:39], s[8:9], v[26:27], v[120:121]
	v_add_f64 v[30:31], v[32:33], -v[124:125]
	v_add_f64 v[34:35], v[24:25], -v[16:17]
	v_fmac_f64_e32 v[120:121], s[18:19], v[26:27]
	v_add_f64 v[26:27], v[28:29], v[20:21]
	v_add_f64 v[8:9], v[8:9], v[16:17]
	v_fmac_f64_e32 v[38:39], s[16:17], v[18:19]
	v_add_f64 v[30:31], v[30:31], v[34:35]
	v_fmac_f64_e32 v[120:121], s[6:7], v[18:19]
	v_fma_f64 v[26:27], -0.5, v[26:27], v[122:123]
	v_add_f64 v[16:17], v[124:125], -v[16:17]
	v_fmac_f64_e32 v[38:39], s[14:15], v[30:31]
	v_fmac_f64_e32 v[120:121], s[14:15], v[30:31]
	v_fma_f64 v[34:35], s[8:9], v[16:17], v[26:27]
	v_add_f64 v[24:25], v[32:33], -v[24:25]
	v_add_f64 v[30:31], v[36:37], -v[28:29]
	;; [unrolled: 1-line block ×3, first 2 shown]
	v_fmac_f64_e32 v[26:27], s[18:19], v[16:17]
	v_add_f64 v[18:19], v[122:123], v[36:37]
	v_fmac_f64_e32 v[34:35], s[6:7], v[24:25]
	v_add_f64 v[30:31], v[30:31], v[32:33]
	;; [unrolled: 2-line block ×3, first 2 shown]
	v_fmac_f64_e32 v[34:35], s[14:15], v[30:31]
	v_fmac_f64_e32 v[26:27], s[14:15], v[30:31]
	v_add_f64 v[30:31], v[36:37], v[14:15]
	v_add_f64 v[18:19], v[18:19], v[20:21]
	v_fmac_f64_e32 v[122:123], -0.5, v[30:31]
	v_add_f64 v[18:19], v[18:19], v[14:15]
	v_fma_f64 v[124:125], s[18:19], v[24:25], v[122:123]
	v_add_f64 v[28:29], v[28:29], -v[36:37]
	v_add_f64 v[14:15], v[20:21], -v[14:15]
	v_fmac_f64_e32 v[122:123], s[8:9], v[24:25]
	v_fmac_f64_e32 v[124:125], s[6:7], v[16:17]
	v_add_f64 v[14:15], v[28:29], v[14:15]
	v_fmac_f64_e32 v[122:123], s[16:17], v[16:17]
	v_fmac_f64_e32 v[124:125], s[14:15], v[14:15]
	;; [unrolled: 1-line block ×3, first 2 shown]
	v_mul_f64 v[14:15], v[34:35], s[16:17]
	v_mul_f64 v[16:17], v[124:125], s[18:19]
	;; [unrolled: 1-line block ×5, first 2 shown]
	v_fmac_f64_e32 v[14:15], s[24:25], v[22:23]
	v_fmac_f64_e32 v[126:127], s[22:23], v[120:121]
	v_mul_f64 v[138:139], v[26:27], s[16:17]
	v_mul_f64 v[140:141], v[34:35], s[24:25]
	v_fmac_f64_e32 v[124:125], s[8:9], v[38:39]
	v_fmac_f64_e32 v[122:123], s[8:9], v[120:121]
	v_mul_f64 v[120:121], v[26:27], s[20:21]
	v_add_f64 v[28:29], v[4:5], v[8:9]
	v_add_f64 v[32:33], v[10:11], v[14:15]
	v_fmac_f64_e32 v[16:17], s[14:15], v[38:39]
	v_add_f64 v[20:21], v[0:1], v[126:127]
	v_fmac_f64_e32 v[138:139], s[20:21], v[12:13]
	v_add_f64 v[30:31], v[118:119], v[18:19]
	v_fmac_f64_e32 v[140:141], s[6:7], v[22:23]
	v_add_f64 v[38:39], v[136:137], v[124:125]
	v_fmac_f64_e32 v[120:121], s[6:7], v[12:13]
	v_add_f64 v[8:9], v[4:5], -v[8:9]
	v_add_f64 v[12:13], v[10:11], -v[14:15]
	;; [unrolled: 1-line block ×5, first 2 shown]
	v_accvgpr_read_b32 v124, a240
	v_add_f64 v[36:37], v[134:135], v[16:17]
	v_add_f64 v[24:25], v[6:7], v[138:139]
	;; [unrolled: 1-line block ×5, first 2 shown]
	v_add_f64 v[16:17], v[134:135], -v[16:17]
	v_add_f64 v[0:1], v[6:7], -v[138:139]
	v_add_f64 v[14:15], v[44:45], -v[140:141]
	v_add_f64 v[6:7], v[2:3], -v[122:123]
	v_accvgpr_read_b32 v126, a242
	v_accvgpr_read_b32 v127, a243
	v_add_f64 v[2:3], v[132:133], -v[120:121]
	ds_write_b128 v186, v[110:113]
	ds_write_b128 v186, v[114:117] offset:48
	ds_write_b128 v186, v[128:131] offset:96
	ds_write_b128 v186, v[102:105] offset:144
	ds_write_b128 v186, v[106:109] offset:192
	ds_write_b128 v186, v[90:93] offset:240
	ds_write_b128 v186, v[94:97] offset:288
	ds_write_b128 v186, v[98:101] offset:336
	ds_write_b128 v186, v[82:85] offset:384
	ds_write_b128 v186, v[86:89] offset:432
	ds_write_b128 v187, v[70:73]
	ds_write_b128 v187, v[74:77] offset:48
	ds_write_b128 v187, v[78:81] offset:96
	ds_write_b128 v187, v[62:65] offset:144
	ds_write_b128 v187, v[66:69] offset:192
	ds_write_b128 v187, v[50:53] offset:240
	ds_write_b128 v187, v[54:57] offset:288
	ds_write_b128 v187, v[58:61] offset:336
	ds_write_b128 v187, v[40:43] offset:384
	ds_write_b128 v187, v[46:49] offset:432
	;; [unrolled: 10-line block ×3, first 2 shown]
	s_waitcnt lgkmcnt(0)
	s_barrier
	ds_read_b128 v[40:43], v185
	ds_read_b128 v[116:119], v185 offset:4320
	ds_read_b128 v[112:115], v185 offset:8640
	;; [unrolled: 1-line block ×29, first 2 shown]
	v_accvgpr_read_b32 v125, a241
	s_waitcnt lgkmcnt(14)
	v_mul_f64 v[122:123], v[126:127], v[118:119]
	v_mul_f64 v[0:1], v[126:127], v[116:117]
	v_fmac_f64_e32 v[122:123], v[124:125], v[116:117]
	v_fma_f64 v[124:125], v[124:125], v[118:119], -v[0:1]
	v_accvgpr_read_b32 v116, a244
	v_accvgpr_read_b32 v118, a246
	;; [unrolled: 1-line block ×4, first 2 shown]
	v_mul_f64 v[142:143], v[118:119], v[114:115]
	v_mul_f64 v[0:1], v[118:119], v[112:113]
	v_fmac_f64_e32 v[142:143], v[116:117], v[112:113]
	v_fma_f64 v[138:139], v[116:117], v[114:115], -v[0:1]
	v_mul_f64 v[116:117], v[202:203], v[82:83]
	v_fmac_f64_e32 v[116:117], v[200:201], v[80:81]
	v_mul_f64 v[80:81], v[202:203], v[80:81]
	v_fma_f64 v[118:119], v[200:201], v[82:83], -v[80:81]
	v_accvgpr_read_b32 v83, a75
	v_accvgpr_read_b32 v82, a74
	v_accvgpr_read_b32 v81, a73
	v_accvgpr_read_b32 v80, a72
	v_mul_f64 v[120:121], v[82:83], v[78:79]
	v_fmac_f64_e32 v[120:121], v[80:81], v[76:77]
	v_mul_f64 v[76:77], v[82:83], v[76:77]
	v_fma_f64 v[78:79], v[80:81], v[78:79], -v[76:77]
	v_accvgpr_read_b32 v80, a86
	v_accvgpr_read_b32 v82, a88
	v_accvgpr_read_b32 v83, a89
	v_accvgpr_read_b32 v81, a87
	;; [unrolled: 8-line block ×3, first 2 shown]
	v_accvgpr_read_b32 v81, a109
	v_mul_f64 v[74:75], v[82:83], v[70:71]
	v_accvgpr_read_b32 v114, a250
	v_accvgpr_read_b32 v115, a251
	v_fmac_f64_e32 v[74:75], v[80:81], v[68:69]
	v_mul_f64 v[68:69], v[82:83], v[68:69]
	v_accvgpr_read_b32 v113, a249
	v_mul_f64 v[2:3], v[114:115], v[110:111]
	v_mul_f64 v[0:1], v[114:115], v[108:109]
	v_fma_f64 v[70:71], v[80:81], v[70:71], -v[68:69]
	v_accvgpr_read_b32 v80, a100
	v_fmac_f64_e32 v[2:3], v[112:113], v[108:109]
	v_fma_f64 v[126:127], v[112:113], v[110:111], -v[0:1]
	v_accvgpr_read_b32 v108, a252
	v_accvgpr_read_b32 v82, a102
	;; [unrolled: 1-line block ×6, first 2 shown]
	v_mul_f64 v[68:69], v[82:83], v[66:67]
	v_accvgpr_read_b32 v109, a253
	v_mul_f64 v[144:145], v[110:111], v[106:107]
	v_mul_f64 v[0:1], v[110:111], v[104:105]
	v_fmac_f64_e32 v[68:69], v[80:81], v[64:65]
	v_mul_f64 v[64:65], v[82:83], v[64:65]
	v_fmac_f64_e32 v[144:145], v[108:109], v[104:105]
	v_fma_f64 v[104:105], v[108:109], v[106:107], -v[0:1]
	v_accvgpr_read_b32 v106, a120
	v_fma_f64 v[64:65], v[80:81], v[66:67], -v[64:65]
	v_accvgpr_read_b32 v80, a124
	v_accvgpr_read_b32 v108, a122
	;; [unrolled: 1-line block ×6, first 2 shown]
	v_mul_f64 v[134:135], v[108:109], v[102:103]
	v_mul_f64 v[0:1], v[108:109], v[100:101]
	v_accvgpr_read_b32 v81, a125
	s_waitcnt lgkmcnt(13)
	v_mul_f64 v[66:67], v[82:83], v[62:63]
	v_fmac_f64_e32 v[134:135], v[106:107], v[100:101]
	v_fma_f64 v[100:101], v[106:107], v[102:103], -v[0:1]
	v_accvgpr_read_b32 v106, a112
	v_fmac_f64_e32 v[66:67], v[80:81], v[60:61]
	v_mul_f64 v[60:61], v[82:83], v[60:61]
	v_accvgpr_read_b32 v108, a114
	v_accvgpr_read_b32 v109, a115
	v_fma_f64 v[62:63], v[80:81], v[62:63], -v[60:61]
	v_accvgpr_read_b32 v80, a136
	v_accvgpr_read_b32 v107, a113
	v_mul_f64 v[146:147], v[108:109], v[98:99]
	v_mul_f64 v[0:1], v[108:109], v[96:97]
	v_accvgpr_read_b32 v82, a138
	v_accvgpr_read_b32 v83, a139
	v_fmac_f64_e32 v[146:147], v[106:107], v[96:97]
	v_fma_f64 v[140:141], v[106:107], v[98:99], -v[0:1]
	v_accvgpr_read_b32 v96, a96
	v_accvgpr_read_b32 v81, a137
	s_waitcnt lgkmcnt(12)
	v_mul_f64 v[60:61], v[82:83], v[58:59]
	v_accvgpr_read_b32 v98, a98
	v_accvgpr_read_b32 v99, a99
	v_fmac_f64_e32 v[60:61], v[80:81], v[56:57]
	v_mul_f64 v[56:57], v[82:83], v[56:57]
	v_accvgpr_read_b32 v97, a97
	v_mul_f64 v[0:1], v[98:99], v[94:95]
	v_fma_f64 v[56:57], v[80:81], v[58:59], -v[56:57]
	v_accvgpr_read_b32 v80, a152
	v_fmac_f64_e32 v[0:1], v[96:97], v[92:93]
	v_mul_f64 v[92:93], v[98:99], v[92:93]
	v_accvgpr_read_b32 v82, a154
	v_accvgpr_read_b32 v83, a155
	v_fma_f64 v[92:93], v[96:97], v[94:95], -v[92:93]
	v_accvgpr_read_b32 v97, a85
	v_accvgpr_read_b32 v81, a153
	s_waitcnt lgkmcnt(11)
	v_mul_f64 v[58:59], v[82:83], v[54:55]
	v_accvgpr_read_b32 v96, a84
	v_fmac_f64_e32 v[58:59], v[80:81], v[52:53]
	v_mul_f64 v[52:53], v[82:83], v[52:53]
	v_accvgpr_read_b32 v95, a83
	v_accvgpr_read_b32 v94, a82
	v_mul_f64 v[176:177], v[96:97], v[90:91]
	v_fma_f64 v[54:55], v[80:81], v[54:55], -v[52:53]
	v_accvgpr_read_b32 v80, a160
	v_fmac_f64_e32 v[176:177], v[94:95], v[88:89]
	v_mul_f64 v[88:89], v[96:97], v[88:89]
	v_accvgpr_read_b32 v82, a162
	v_accvgpr_read_b32 v83, a163
	v_fma_f64 v[88:89], v[94:95], v[90:91], -v[88:89]
	v_accvgpr_read_b32 v97, a95
	v_accvgpr_read_b32 v81, a161
	s_waitcnt lgkmcnt(10)
	v_mul_f64 v[52:53], v[82:83], v[50:51]
	v_accvgpr_read_b32 v96, a94
	v_fmac_f64_e32 v[52:53], v[80:81], v[48:49]
	v_mul_f64 v[48:49], v[82:83], v[48:49]
	v_accvgpr_read_b32 v95, a93
	v_accvgpr_read_b32 v94, a92
	v_mul_f64 v[136:137], v[96:97], v[86:87]
	v_fma_f64 v[48:49], v[80:81], v[50:51], -v[48:49]
	v_accvgpr_read_b32 v80, a104
	v_fmac_f64_e32 v[136:137], v[94:95], v[84:85]
	v_mul_f64 v[84:85], v[96:97], v[84:85]
	v_accvgpr_read_b32 v82, a106
	v_accvgpr_read_b32 v83, a107
	v_fma_f64 v[132:133], v[94:95], v[86:87], -v[84:85]
	v_accvgpr_read_b32 v81, a105
	s_waitcnt lgkmcnt(8)
	v_mul_f64 v[94:95], v[82:83], v[46:47]
	v_fmac_f64_e32 v[94:95], v[80:81], v[44:45]
	v_mul_f64 v[44:45], v[82:83], v[44:45]
	v_fma_f64 v[98:99], v[80:81], v[46:47], -v[44:45]
	v_accvgpr_read_b32 v44, a116
	v_accvgpr_read_b32 v46, a118
	;; [unrolled: 1-line block ×4, first 2 shown]
	s_waitcnt lgkmcnt(7)
	v_mul_f64 v[108:109], v[46:47], v[38:39]
	v_accvgpr_read_b32 v80, a132
	v_fmac_f64_e32 v[108:109], v[44:45], v[36:37]
	v_mul_f64 v[36:37], v[46:47], v[36:37]
	v_accvgpr_read_b32 v82, a134
	v_accvgpr_read_b32 v83, a135
	v_fma_f64 v[46:47], v[44:45], v[38:39], -v[36:37]
	v_accvgpr_read_b32 v81, a133
	s_waitcnt lgkmcnt(6)
	v_mul_f64 v[36:37], v[82:83], v[34:35]
	v_fmac_f64_e32 v[36:37], v[80:81], v[32:33]
	v_mul_f64 v[32:33], v[82:83], v[32:33]
	v_fma_f64 v[80:81], v[80:81], v[34:35], -v[32:33]
	v_accvgpr_read_b32 v32, a140
	v_accvgpr_read_b32 v34, a142
	v_accvgpr_read_b32 v35, a143
	v_accvgpr_read_b32 v33, a141
	s_waitcnt lgkmcnt(5)
	v_mul_f64 v[110:111], v[34:35], v[30:31]
	v_fmac_f64_e32 v[110:111], v[32:33], v[28:29]
	v_mul_f64 v[28:29], v[34:35], v[28:29]
	v_fma_f64 v[102:103], v[32:33], v[30:31], -v[28:29]
	v_accvgpr_read_b32 v28, a128
	v_accvgpr_read_b32 v30, a130
	v_accvgpr_read_b32 v31, a131
	;; [unrolled: 9-line block ×3, first 2 shown]
	v_accvgpr_read_b32 v25, a145
	s_waitcnt lgkmcnt(3)
	v_mul_f64 v[112:113], v[26:27], v[22:23]
	v_fmac_f64_e32 v[112:113], v[24:25], v[20:21]
	v_mul_f64 v[20:21], v[26:27], v[20:21]
	v_accvgpr_read_b32 v26, a148
	v_accvgpr_read_b32 v28, a150
	;; [unrolled: 1-line block ×3, first 2 shown]
	v_fma_f64 v[24:25], v[24:25], v[22:23], -v[20:21]
	v_accvgpr_read_b32 v27, a149
	s_waitcnt lgkmcnt(2)
	v_mul_f64 v[20:21], v[28:29], v[18:19]
	v_fmac_f64_e32 v[20:21], v[26:27], v[16:17]
	v_mul_f64 v[16:17], v[28:29], v[16:17]
	v_fma_f64 v[84:85], v[26:27], v[18:19], -v[16:17]
	v_accvgpr_read_b32 v16, a156
	v_accvgpr_read_b32 v18, a158
	v_accvgpr_read_b32 v19, a159
	v_accvgpr_read_b32 v17, a157
	s_waitcnt lgkmcnt(1)
	v_mul_f64 v[114:115], v[18:19], v[14:15]
	v_fmac_f64_e32 v[114:115], v[16:17], v[12:13]
	v_mul_f64 v[12:13], v[18:19], v[12:13]
	v_fma_f64 v[106:107], v[16:17], v[14:15], -v[12:13]
	v_accvgpr_read_b32 v12, a164
	v_accvgpr_read_b32 v14, a166
	;; [unrolled: 1-line block ×4, first 2 shown]
	s_waitcnt lgkmcnt(0)
	v_mul_f64 v[96:97], v[14:15], v[10:11]
	v_fmac_f64_e32 v[96:97], v[12:13], v[8:9]
	v_mul_f64 v[8:9], v[14:15], v[8:9]
	v_fma_f64 v[86:87], v[12:13], v[10:11], -v[8:9]
	v_add_f64 v[8:9], v[40:41], v[142:143]
	v_add_f64 v[8:9], v[8:9], v[144:145]
	;; [unrolled: 1-line block ×5, first 2 shown]
	v_fma_f64 v[30:31], -0.5, v[8:9], v[40:41]
	v_add_f64 v[8:9], v[138:139], -v[88:89]
	v_fma_f64 v[32:33], s[18:19], v[8:9], v[30:31]
	v_add_f64 v[12:13], v[104:105], -v[140:141]
	v_add_f64 v[10:11], v[142:143], -v[144:145]
	;; [unrolled: 1-line block ×3, first 2 shown]
	v_fmac_f64_e32 v[30:31], s[8:9], v[8:9]
	v_fmac_f64_e32 v[32:33], s[16:17], v[12:13]
	v_add_f64 v[10:11], v[10:11], v[14:15]
	v_fmac_f64_e32 v[30:31], s[6:7], v[12:13]
	v_fmac_f64_e32 v[32:33], s[14:15], v[10:11]
	;; [unrolled: 1-line block ×3, first 2 shown]
	v_add_f64 v[10:11], v[142:143], v[176:177]
	v_fmac_f64_e32 v[40:41], -0.5, v[10:11]
	v_fma_f64 v[10:11], s[8:9], v[12:13], v[40:41]
	v_fmac_f64_e32 v[40:41], s[18:19], v[12:13]
	v_fmac_f64_e32 v[10:11], s[16:17], v[8:9]
	;; [unrolled: 1-line block ×3, first 2 shown]
	v_add_f64 v[8:9], v[42:43], v[138:139]
	v_add_f64 v[8:9], v[8:9], v[104:105]
	;; [unrolled: 1-line block ×3, first 2 shown]
	v_add_f64 v[14:15], v[144:145], -v[142:143]
	v_add_f64 v[16:17], v[146:147], -v[176:177]
	v_add_f64 v[22:23], v[8:9], v[88:89]
	v_add_f64 v[8:9], v[104:105], v[140:141]
	;; [unrolled: 1-line block ×3, first 2 shown]
	v_fma_f64 v[44:45], -0.5, v[8:9], v[42:43]
	v_add_f64 v[8:9], v[142:143], -v[176:177]
	v_fmac_f64_e32 v[10:11], s[14:15], v[14:15]
	v_fmac_f64_e32 v[40:41], s[14:15], v[14:15]
	v_fma_f64 v[34:35], s[8:9], v[8:9], v[44:45]
	v_add_f64 v[12:13], v[144:145], -v[146:147]
	v_add_f64 v[14:15], v[138:139], -v[104:105]
	v_add_f64 v[16:17], v[88:89], -v[140:141]
	v_fmac_f64_e32 v[44:45], s[18:19], v[8:9]
	v_fmac_f64_e32 v[34:35], s[6:7], v[12:13]
	v_add_f64 v[14:15], v[14:15], v[16:17]
	v_fmac_f64_e32 v[44:45], s[16:17], v[12:13]
	v_fmac_f64_e32 v[34:35], s[14:15], v[14:15]
	;; [unrolled: 1-line block ×3, first 2 shown]
	v_add_f64 v[14:15], v[138:139], v[88:89]
	v_fmac_f64_e32 v[42:43], -0.5, v[14:15]
	v_fma_f64 v[38:39], s[18:19], v[12:13], v[42:43]
	v_add_f64 v[14:15], v[104:105], -v[138:139]
	v_add_f64 v[16:17], v[140:141], -v[88:89]
	v_fmac_f64_e32 v[42:43], s[8:9], v[12:13]
	v_fmac_f64_e32 v[38:39], s[6:7], v[8:9]
	v_add_f64 v[14:15], v[14:15], v[16:17]
	v_fmac_f64_e32 v[42:43], s[16:17], v[8:9]
	v_add_f64 v[12:13], v[134:135], v[0:1]
	v_fmac_f64_e32 v[38:39], s[14:15], v[14:15]
	v_fmac_f64_e32 v[42:43], s[14:15], v[14:15]
	v_fma_f64 v[12:13], -0.5, v[12:13], v[122:123]
	v_add_f64 v[14:15], v[126:127], -v[132:133]
	v_fma_f64 v[18:19], s[18:19], v[14:15], v[12:13]
	v_add_f64 v[16:17], v[100:101], -v[92:93]
	v_add_f64 v[26:27], v[2:3], -v[134:135]
	;; [unrolled: 1-line block ×3, first 2 shown]
	v_fmac_f64_e32 v[12:13], s[8:9], v[14:15]
	v_fmac_f64_e32 v[18:19], s[16:17], v[16:17]
	v_add_f64 v[26:27], v[26:27], v[50:51]
	v_fmac_f64_e32 v[12:13], s[6:7], v[16:17]
	v_fmac_f64_e32 v[18:19], s[14:15], v[26:27]
	;; [unrolled: 1-line block ×3, first 2 shown]
	v_add_f64 v[26:27], v[2:3], v[136:137]
	v_add_f64 v[8:9], v[122:123], v[2:3]
	v_fmac_f64_e32 v[122:123], -0.5, v[26:27]
	v_fma_f64 v[26:27], s[8:9], v[16:17], v[122:123]
	v_add_f64 v[50:51], v[134:135], -v[2:3]
	v_add_f64 v[88:89], v[0:1], -v[136:137]
	v_fmac_f64_e32 v[122:123], s[18:19], v[16:17]
	v_fmac_f64_e32 v[26:27], s[16:17], v[14:15]
	v_add_f64 v[50:51], v[50:51], v[88:89]
	v_fmac_f64_e32 v[122:123], s[6:7], v[14:15]
	v_add_f64 v[16:17], v[100:101], v[92:93]
	v_add_f64 v[8:9], v[8:9], v[134:135]
	v_fmac_f64_e32 v[26:27], s[14:15], v[50:51]
	v_fmac_f64_e32 v[122:123], s[14:15], v[50:51]
	v_fma_f64 v[50:51], -0.5, v[16:17], v[124:125]
	v_add_f64 v[2:3], v[2:3], -v[136:137]
	v_add_f64 v[8:9], v[8:9], v[0:1]
	v_fma_f64 v[88:89], s[8:9], v[2:3], v[50:51]
	v_add_f64 v[0:1], v[134:135], -v[0:1]
	v_add_f64 v[16:17], v[126:127], -v[100:101]
	v_add_f64 v[104:105], v[132:133], -v[92:93]
	v_fmac_f64_e32 v[50:51], s[18:19], v[2:3]
	v_fmac_f64_e32 v[88:89], s[6:7], v[0:1]
	v_add_f64 v[16:17], v[16:17], v[104:105]
	v_fmac_f64_e32 v[50:51], s[16:17], v[0:1]
	v_fmac_f64_e32 v[88:89], s[14:15], v[16:17]
	;; [unrolled: 1-line block ×3, first 2 shown]
	v_add_f64 v[16:17], v[126:127], v[132:133]
	v_add_f64 v[14:15], v[124:125], v[126:127]
	v_fmac_f64_e32 v[124:125], -0.5, v[16:17]
	v_add_f64 v[14:15], v[14:15], v[100:101]
	v_fma_f64 v[104:105], s[18:19], v[0:1], v[124:125]
	v_fmac_f64_e32 v[124:125], s[8:9], v[0:1]
	v_mul_f64 v[0:1], v[88:89], s[16:17]
	v_add_f64 v[14:15], v[14:15], v[92:93]
	v_add_f64 v[16:17], v[100:101], -v[126:127]
	v_add_f64 v[92:93], v[92:93], -v[132:133]
	v_fmac_f64_e32 v[0:1], s[24:25], v[18:19]
	v_fmac_f64_e32 v[104:105], s[6:7], v[2:3]
	v_add_f64 v[16:17], v[16:17], v[92:93]
	v_add_f64 v[140:141], v[32:33], v[0:1]
	v_add_f64 v[32:33], v[32:33], -v[0:1]
	v_add_f64 v[0:1], v[4:5], v[120:121]
	v_fmac_f64_e32 v[104:105], s[14:15], v[16:17]
	v_fmac_f64_e32 v[124:125], s[16:17], v[2:3]
	v_add_f64 v[0:1], v[0:1], v[74:75]
	v_fmac_f64_e32 v[124:125], s[14:15], v[16:17]
	v_mul_f64 v[2:3], v[104:105], s[18:19]
	v_mul_f64 v[104:105], v[104:105], s[14:15]
	v_add_f64 v[0:1], v[0:1], v[66:67]
	v_fmac_f64_e32 v[2:3], s[14:15], v[26:27]
	v_mul_f64 v[92:93], v[124:125], s[18:19]
	v_fmac_f64_e32 v[104:105], s[8:9], v[26:27]
	v_mul_f64 v[26:27], v[124:125], s[22:23]
	v_add_f64 v[124:125], v[0:1], v[58:59]
	v_add_f64 v[0:1], v[74:75], v[66:67]
	;; [unrolled: 1-line block ×3, first 2 shown]
	v_fmac_f64_e32 v[92:93], s[22:23], v[122:123]
	v_mul_f64 v[100:101], v[50:51], s[16:17]
	v_fmac_f64_e32 v[26:27], s[8:9], v[122:123]
	v_mul_f64 v[50:51], v[50:51], s[20:21]
	v_fma_f64 v[122:123], -0.5, v[0:1], v[4:5]
	v_add_f64 v[0:1], v[78:79], -v[54:55]
	v_add_f64 v[136:137], v[28:29], v[8:9]
	v_add_f64 v[144:145], v[10:11], v[2:3]
	v_fmac_f64_e32 v[100:101], s[20:21], v[12:13]
	v_fmac_f64_e32 v[50:51], s[6:7], v[12:13]
	v_add_f64 v[12:13], v[28:29], -v[8:9]
	v_add_f64 v[28:29], v[10:11], -v[2:3]
	v_fma_f64 v[126:127], s[18:19], v[0:1], v[122:123]
	v_add_f64 v[2:3], v[70:71], -v[62:63]
	v_add_f64 v[8:9], v[120:121], -v[74:75]
	;; [unrolled: 1-line block ×3, first 2 shown]
	v_fmac_f64_e32 v[122:123], s[8:9], v[0:1]
	v_fmac_f64_e32 v[126:127], s[16:17], v[2:3]
	v_add_f64 v[8:9], v[8:9], v[10:11]
	v_fmac_f64_e32 v[122:123], s[6:7], v[2:3]
	v_fmac_f64_e32 v[126:127], s[14:15], v[8:9]
	;; [unrolled: 1-line block ×3, first 2 shown]
	v_add_f64 v[8:9], v[120:121], v[58:59]
	v_add_f64 v[14:15], v[14:15], v[132:133]
	v_fmac_f64_e32 v[4:5], -0.5, v[8:9]
	v_add_f64 v[138:139], v[22:23], v[14:15]
	v_add_f64 v[14:15], v[22:23], -v[14:15]
	v_fma_f64 v[22:23], s[8:9], v[2:3], v[4:5]
	v_add_f64 v[8:9], v[74:75], -v[120:121]
	v_add_f64 v[10:11], v[66:67], -v[58:59]
	v_fmac_f64_e32 v[4:5], s[18:19], v[2:3]
	v_fmac_f64_e32 v[22:23], s[16:17], v[0:1]
	v_add_f64 v[8:9], v[8:9], v[10:11]
	v_fmac_f64_e32 v[4:5], s[6:7], v[0:1]
	v_add_f64 v[2:3], v[70:71], v[62:63]
	v_mul_f64 v[88:89], v[88:89], s[24:25]
	v_fmac_f64_e32 v[22:23], s[14:15], v[8:9]
	v_fmac_f64_e32 v[4:5], s[14:15], v[8:9]
	v_fma_f64 v[2:3], -0.5, v[2:3], v[6:7]
	v_add_f64 v[8:9], v[120:121], -v[58:59]
	v_add_f64 v[132:133], v[30:31], v[100:101]
	v_fmac_f64_e32 v[88:89], s[6:7], v[18:19]
	v_add_f64 v[146:147], v[38:39], v[104:105]
	v_add_f64 v[18:19], v[42:43], v[26:27]
	;; [unrolled: 1-line block ×3, first 2 shown]
	v_add_f64 v[200:201], v[30:31], -v[100:101]
	v_add_f64 v[30:31], v[38:39], -v[104:105]
	;; [unrolled: 1-line block ×4, first 2 shown]
	v_fma_f64 v[38:39], s[8:9], v[8:9], v[2:3]
	v_add_f64 v[10:11], v[74:75], -v[66:67]
	v_add_f64 v[26:27], v[78:79], -v[70:71]
	;; [unrolled: 1-line block ×3, first 2 shown]
	v_fmac_f64_e32 v[2:3], s[18:19], v[8:9]
	v_fmac_f64_e32 v[38:39], s[6:7], v[10:11]
	v_add_f64 v[26:27], v[26:27], v[44:45]
	v_fmac_f64_e32 v[2:3], s[16:17], v[10:11]
	v_fmac_f64_e32 v[38:39], s[14:15], v[26:27]
	;; [unrolled: 1-line block ×3, first 2 shown]
	v_add_f64 v[26:27], v[78:79], v[54:55]
	v_add_f64 v[0:1], v[6:7], v[78:79]
	v_fmac_f64_e32 v[6:7], -0.5, v[26:27]
	v_fma_f64 v[66:67], s[18:19], v[10:11], v[6:7]
	v_fmac_f64_e32 v[6:7], s[8:9], v[10:11]
	v_fmac_f64_e32 v[66:67], s[6:7], v[8:9]
	;; [unrolled: 1-line block ×3, first 2 shown]
	v_add_f64 v[8:9], v[116:117], v[76:77]
	v_add_f64 v[26:27], v[70:71], -v[78:79]
	v_add_f64 v[44:45], v[62:63], -v[54:55]
	v_add_f64 v[8:9], v[8:9], v[68:69]
	v_add_f64 v[26:27], v[26:27], v[44:45]
	;; [unrolled: 1-line block ×4, first 2 shown]
	v_fmac_f64_e32 v[66:67], s[14:15], v[26:27]
	v_fmac_f64_e32 v[6:7], s[14:15], v[26:27]
	v_add_f64 v[26:27], v[8:9], v[52:53]
	v_add_f64 v[8:9], v[68:69], v[60:61]
	;; [unrolled: 1-line block ×3, first 2 shown]
	v_fma_f64 v[44:45], -0.5, v[8:9], v[116:117]
	v_add_f64 v[8:9], v[72:73], -v[48:49]
	v_add_f64 v[0:1], v[0:1], v[54:55]
	v_fma_f64 v[10:11], s[18:19], v[8:9], v[44:45]
	v_add_f64 v[50:51], v[64:65], -v[56:57]
	v_add_f64 v[54:55], v[76:77], -v[68:69]
	v_add_f64 v[58:59], v[52:53], -v[60:61]
	v_fmac_f64_e32 v[44:45], s[8:9], v[8:9]
	v_fmac_f64_e32 v[10:11], s[16:17], v[50:51]
	v_add_f64 v[54:55], v[54:55], v[58:59]
	v_fmac_f64_e32 v[44:45], s[6:7], v[50:51]
	v_fmac_f64_e32 v[10:11], s[14:15], v[54:55]
	;; [unrolled: 1-line block ×3, first 2 shown]
	v_add_f64 v[54:55], v[76:77], v[52:53]
	v_fmac_f64_e32 v[116:117], -0.5, v[54:55]
	v_fma_f64 v[58:59], s[8:9], v[50:51], v[116:117]
	v_fmac_f64_e32 v[116:117], s[18:19], v[50:51]
	v_fmac_f64_e32 v[58:59], s[16:17], v[8:9]
	;; [unrolled: 1-line block ×3, first 2 shown]
	v_add_f64 v[8:9], v[118:119], v[72:73]
	v_add_f64 v[8:9], v[8:9], v[64:65]
	;; [unrolled: 1-line block ×3, first 2 shown]
	v_add_f64 v[54:55], v[68:69], -v[76:77]
	v_add_f64 v[62:63], v[60:61], -v[52:53]
	v_add_f64 v[70:71], v[8:9], v[48:49]
	v_add_f64 v[8:9], v[64:65], v[56:57]
	;; [unrolled: 1-line block ×3, first 2 shown]
	v_fma_f64 v[74:75], -0.5, v[8:9], v[118:119]
	v_add_f64 v[8:9], v[76:77], -v[52:53]
	v_fmac_f64_e32 v[58:59], s[14:15], v[54:55]
	v_fmac_f64_e32 v[116:117], s[14:15], v[54:55]
	v_fma_f64 v[50:51], s[8:9], v[8:9], v[74:75]
	v_add_f64 v[52:53], v[68:69], -v[60:61]
	v_add_f64 v[54:55], v[72:73], -v[64:65]
	;; [unrolled: 1-line block ×3, first 2 shown]
	v_fmac_f64_e32 v[74:75], s[18:19], v[8:9]
	v_fmac_f64_e32 v[50:51], s[6:7], v[52:53]
	v_add_f64 v[54:55], v[54:55], v[60:61]
	v_fmac_f64_e32 v[74:75], s[16:17], v[52:53]
	v_fmac_f64_e32 v[50:51], s[14:15], v[54:55]
	;; [unrolled: 1-line block ×3, first 2 shown]
	v_add_f64 v[54:55], v[72:73], v[48:49]
	v_fmac_f64_e32 v[118:119], -0.5, v[54:55]
	v_fma_f64 v[62:63], s[18:19], v[52:53], v[118:119]
	v_add_f64 v[54:55], v[64:65], -v[72:73]
	v_add_f64 v[48:49], v[56:57], -v[48:49]
	v_fmac_f64_e32 v[118:119], s[8:9], v[52:53]
	v_add_f64 v[48:49], v[54:55], v[48:49]
	v_fmac_f64_e32 v[118:119], s[16:17], v[8:9]
	v_fmac_f64_e32 v[118:119], s[14:15], v[48:49]
	v_mul_f64 v[78:79], v[118:119], s[18:19]
	v_mul_f64 v[104:105], v[118:119], s[22:23]
	v_add_f64 v[142:143], v[34:35], v[88:89]
	v_add_f64 v[34:35], v[34:35], -v[88:89]
	v_fmac_f64_e32 v[62:63], s[6:7], v[8:9]
	v_fmac_f64_e32 v[78:79], s[22:23], v[116:117]
	v_mul_f64 v[88:89], v[74:75], s[16:17]
	v_add_f64 v[54:55], v[0:1], v[70:71]
	v_fmac_f64_e32 v[104:105], s[8:9], v[116:117]
	v_mul_f64 v[116:117], v[74:75], s[20:21]
	v_add_f64 v[74:75], v[0:1], -v[70:71]
	v_add_f64 v[0:1], v[128:129], v[108:109]
	v_fmac_f64_e32 v[62:63], s[14:15], v[48:49]
	v_add_f64 v[0:1], v[0:1], v[110:111]
	v_mul_f64 v[64:65], v[50:51], s[16:17]
	v_mul_f64 v[76:77], v[62:63], s[18:19]
	v_add_f64 v[0:1], v[0:1], v[112:113]
	v_fmac_f64_e32 v[64:65], s[24:25], v[10:11]
	v_fmac_f64_e32 v[76:77], s[14:15], v[58:59]
	v_mul_f64 v[100:101], v[62:63], s[14:15]
	v_fmac_f64_e32 v[116:117], s[6:7], v[44:45]
	v_add_f64 v[118:119], v[0:1], v[114:115]
	v_add_f64 v[0:1], v[110:111], v[112:113]
	v_add_f64 v[48:49], v[126:127], v[64:65]
	v_add_f64 v[8:9], v[22:23], v[76:77]
	v_add_f64 v[60:61], v[4:5], v[78:79]
	v_fmac_f64_e32 v[100:101], s[8:9], v[58:59]
	v_add_f64 v[62:63], v[6:7], v[104:105]
	v_add_f64 v[58:59], v[2:3], v[116:117]
	v_add_f64 v[68:69], v[126:127], -v[64:65]
	v_add_f64 v[64:65], v[22:23], -v[76:77]
	;; [unrolled: 1-line block ×5, first 2 shown]
	v_fma_f64 v[116:117], -0.5, v[0:1], v[128:129]
	v_add_f64 v[2:3], v[46:47], -v[106:107]
	v_add_f64 v[52:53], v[124:125], v[26:27]
	v_add_f64 v[72:73], v[124:125], -v[26:27]
	v_fma_f64 v[120:121], s[18:19], v[2:3], v[116:117]
	v_add_f64 v[22:23], v[102:103], -v[24:25]
	v_add_f64 v[0:1], v[108:109], -v[110:111]
	;; [unrolled: 1-line block ×3, first 2 shown]
	v_fmac_f64_e32 v[116:117], s[8:9], v[2:3]
	v_fmac_f64_e32 v[120:121], s[16:17], v[22:23]
	v_add_f64 v[0:1], v[0:1], v[26:27]
	v_fmac_f64_e32 v[116:117], s[6:7], v[22:23]
	v_add_f64 v[16:17], v[40:41], v[92:93]
	v_add_f64 v[40:41], v[40:41], -v[92:93]
	v_mul_f64 v[92:93], v[50:51], s[24:25]
	v_fmac_f64_e32 v[120:121], s[14:15], v[0:1]
	v_fmac_f64_e32 v[116:117], s[14:15], v[0:1]
	v_add_f64 v[0:1], v[108:109], v[114:115]
	v_fmac_f64_e32 v[92:93], s[6:7], v[10:11]
	v_fmac_f64_e32 v[128:129], -0.5, v[0:1]
	v_add_f64 v[50:51], v[38:39], v[92:93]
	v_add_f64 v[70:71], v[38:39], -v[92:93]
	v_fma_f64 v[0:1], s[8:9], v[22:23], v[128:129]
	v_add_f64 v[26:27], v[110:111], -v[108:109]
	v_add_f64 v[38:39], v[112:113], -v[114:115]
	v_fmac_f64_e32 v[128:129], s[18:19], v[22:23]
	v_fmac_f64_e32 v[0:1], s[16:17], v[2:3]
	v_add_f64 v[26:27], v[26:27], v[38:39]
	v_fmac_f64_e32 v[128:129], s[6:7], v[2:3]
	v_add_f64 v[22:23], v[102:103], v[24:25]
	v_fmac_f64_e32 v[88:89], s[20:21], v[44:45]
	v_fmac_f64_e32 v[0:1], s[14:15], v[26:27]
	;; [unrolled: 1-line block ×3, first 2 shown]
	v_fma_f64 v[22:23], -0.5, v[22:23], v[130:131]
	v_add_f64 v[26:27], v[108:109], -v[114:115]
	v_add_f64 v[56:57], v[122:123], v[88:89]
	v_add_f64 v[4:5], v[122:123], -v[88:89]
	v_fma_f64 v[38:39], s[8:9], v[26:27], v[22:23]
	v_add_f64 v[44:45], v[110:111], -v[112:113]
	v_add_f64 v[88:89], v[46:47], -v[102:103]
	;; [unrolled: 1-line block ×3, first 2 shown]
	v_fmac_f64_e32 v[22:23], s[18:19], v[26:27]
	v_fmac_f64_e32 v[38:39], s[6:7], v[44:45]
	v_add_f64 v[88:89], v[88:89], v[92:93]
	v_fmac_f64_e32 v[22:23], s[16:17], v[44:45]
	v_fmac_f64_e32 v[38:39], s[14:15], v[88:89]
	;; [unrolled: 1-line block ×3, first 2 shown]
	v_add_f64 v[88:89], v[46:47], v[106:107]
	v_add_f64 v[2:3], v[130:131], v[46:47]
	v_fmac_f64_e32 v[130:131], -0.5, v[88:89]
	v_fma_f64 v[114:115], s[18:19], v[44:45], v[130:131]
	v_fmac_f64_e32 v[130:131], s[8:9], v[44:45]
	v_add_f64 v[2:3], v[2:3], v[102:103]
	v_fmac_f64_e32 v[114:115], s[6:7], v[26:27]
	v_fmac_f64_e32 v[130:131], s[16:17], v[26:27]
	v_add_f64 v[26:27], v[90:91], v[20:21]
	v_add_f64 v[2:3], v[2:3], v[24:25]
	v_add_f64 v[46:47], v[102:103], -v[46:47]
	v_add_f64 v[24:25], v[24:25], -v[106:107]
	v_fma_f64 v[26:27], -0.5, v[26:27], v[94:95]
	v_add_f64 v[44:45], v[80:81], -v[86:87]
	v_add_f64 v[10:11], v[66:67], v[100:101]
	v_add_f64 v[66:67], v[66:67], -v[100:101]
	v_add_f64 v[24:25], v[46:47], v[24:25]
	v_fma_f64 v[46:47], s[18:19], v[44:45], v[26:27]
	v_add_f64 v[88:89], v[82:83], -v[84:85]
	v_add_f64 v[92:93], v[36:37], -v[90:91]
	;; [unrolled: 1-line block ×3, first 2 shown]
	v_fmac_f64_e32 v[26:27], s[8:9], v[44:45]
	v_fmac_f64_e32 v[46:47], s[16:17], v[88:89]
	v_add_f64 v[92:93], v[92:93], v[100:101]
	v_fmac_f64_e32 v[26:27], s[6:7], v[88:89]
	v_fmac_f64_e32 v[46:47], s[14:15], v[92:93]
	;; [unrolled: 1-line block ×3, first 2 shown]
	v_add_f64 v[92:93], v[36:37], v[96:97]
	v_fmac_f64_e32 v[114:115], s[14:15], v[24:25]
	v_fmac_f64_e32 v[130:131], s[14:15], v[24:25]
	v_add_f64 v[24:25], v[94:95], v[36:37]
	v_fmac_f64_e32 v[94:95], -0.5, v[92:93]
	v_fma_f64 v[100:101], s[8:9], v[88:89], v[94:95]
	v_add_f64 v[92:93], v[90:91], -v[36:37]
	v_add_f64 v[102:103], v[20:21], -v[96:97]
	v_fmac_f64_e32 v[94:95], s[18:19], v[88:89]
	v_add_f64 v[88:89], v[82:83], v[84:85]
	v_add_f64 v[24:25], v[24:25], v[90:91]
	;; [unrolled: 1-line block ×3, first 2 shown]
	v_fma_f64 v[102:103], -0.5, v[88:89], v[98:99]
	v_add_f64 v[36:37], v[36:37], -v[96:97]
	v_add_f64 v[24:25], v[24:25], v[20:21]
	v_fma_f64 v[104:105], s[8:9], v[36:37], v[102:103]
	v_add_f64 v[20:21], v[90:91], -v[20:21]
	v_add_f64 v[88:89], v[80:81], -v[82:83]
	;; [unrolled: 1-line block ×3, first 2 shown]
	v_fmac_f64_e32 v[102:103], s[18:19], v[36:37]
	v_fmac_f64_e32 v[104:105], s[6:7], v[20:21]
	v_add_f64 v[88:89], v[88:89], v[90:91]
	v_fmac_f64_e32 v[102:103], s[16:17], v[20:21]
	v_fmac_f64_e32 v[104:105], s[14:15], v[88:89]
	v_fmac_f64_e32 v[102:103], s[14:15], v[88:89]
	v_add_f64 v[88:89], v[80:81], v[86:87]
	v_fmac_f64_e32 v[100:101], s[16:17], v[44:45]
	v_fmac_f64_e32 v[94:95], s[6:7], v[44:45]
	v_add_f64 v[44:45], v[98:99], v[80:81]
	v_fmac_f64_e32 v[98:99], -0.5, v[88:89]
	v_add_f64 v[2:3], v[2:3], v[106:107]
	v_add_f64 v[44:45], v[44:45], v[82:83]
	v_fma_f64 v[106:107], s[18:19], v[20:21], v[98:99]
	v_add_f64 v[80:81], v[82:83], -v[80:81]
	v_add_f64 v[82:83], v[84:85], -v[86:87]
	v_fmac_f64_e32 v[106:107], s[6:7], v[36:37]
	v_add_f64 v[80:81], v[80:81], v[82:83]
	v_fmac_f64_e32 v[98:99], s[8:9], v[20:21]
	v_fmac_f64_e32 v[106:107], s[14:15], v[80:81]
	;; [unrolled: 1-line block ×5, first 2 shown]
	v_mul_f64 v[20:21], v[104:105], s[16:17]
	v_mul_f64 v[36:37], v[106:107], s[18:19]
	;; [unrolled: 1-line block ×4, first 2 shown]
	v_fmac_f64_e32 v[94:95], s[14:15], v[92:93]
	v_add_f64 v[44:45], v[44:45], v[84:85]
	v_fmac_f64_e32 v[20:21], s[24:25], v[46:47]
	v_fmac_f64_e32 v[36:37], s[14:15], v[100:101]
	v_mul_f64 v[110:111], v[98:99], s[18:19]
	v_fmac_f64_e32 v[122:123], s[20:21], v[26:27]
	v_fmac_f64_e32 v[124:125], s[6:7], v[46:47]
	v_mul_f64 v[46:47], v[106:107], s[14:15]
	v_mul_f64 v[126:127], v[98:99], s[22:23]
	;; [unrolled: 1-line block ×3, first 2 shown]
	v_add_f64 v[24:25], v[24:25], v[96:97]
	v_add_f64 v[44:45], v[44:45], v[86:87]
	v_add_f64 v[80:81], v[0:1], v[36:37]
	v_fmac_f64_e32 v[110:111], s[22:23], v[94:95]
	v_add_f64 v[92:93], v[116:117], v[122:123]
	v_add_f64 v[86:87], v[38:39], v[124:125]
	v_fmac_f64_e32 v[46:47], s[8:9], v[100:101]
	v_fmac_f64_e32 v[126:127], s[8:9], v[94:95]
	;; [unrolled: 1-line block ×3, first 2 shown]
	v_add_f64 v[100:101], v[0:1], -v[36:37]
	v_add_f64 v[0:1], v[116:117], -v[122:123]
	;; [unrolled: 1-line block ×3, first 2 shown]
	v_accvgpr_read_b32 v125, a71
	v_add_f64 v[88:89], v[118:119], v[24:25]
	v_add_f64 v[84:85], v[120:121], v[20:21]
	;; [unrolled: 1-line block ×7, first 2 shown]
	v_add_f64 v[108:109], v[118:119], -v[24:25]
	v_add_f64 v[104:105], v[120:121], -v[20:21]
	;; [unrolled: 1-line block ×7, first 2 shown]
	v_accvgpr_read_b32 v124, a70
	s_barrier
	ds_write_b128 v182, v[136:139]
	ds_write_b128 v182, v[140:143] offset:480
	ds_write_b128 v182, v[144:147] offset:960
	ds_write_b128 v182, v[16:19] offset:1440
	ds_write_b128 v182, v[132:135] offset:1920
	ds_write_b128 v182, v[12:15] offset:2400
	ds_write_b128 v182, v[32:35] offset:2880
	ds_write_b128 v182, v[28:31] offset:3360
	ds_write_b128 v182, v[40:43] offset:3840
	ds_write_b128 v182, v[200:203] offset:4320
	ds_write_b128 v183, v[52:55]
	ds_write_b128 v183, v[48:51] offset:480
	ds_write_b128 v183, v[8:11] offset:960
	ds_write_b128 v183, v[60:63] offset:1440
	ds_write_b128 v183, v[56:59] offset:1920
	ds_write_b128 v183, v[72:75] offset:2400
	ds_write_b128 v183, v[68:71] offset:2880
	ds_write_b128 v183, v[64:67] offset:3360
	ds_write_b128 v183, v[76:79] offset:3840
	ds_write_b128 v183, v[4:7] offset:4320
	;; [unrolled: 10-line block ×3, first 2 shown]
	s_waitcnt lgkmcnt(0)
	s_barrier
	ds_read_b128 v[36:39], v185
	ds_read_b128 v[116:119], v185 offset:14400
	ds_read_b128 v[112:115], v185 offset:28800
	;; [unrolled: 1-line block ×29, first 2 shown]
	v_accvgpr_read_b32 v123, a69
	v_accvgpr_read_b32 v122, a68
	s_waitcnt lgkmcnt(14)
	v_mul_f64 v[120:121], v[124:125], v[118:119]
	v_fmac_f64_e32 v[120:121], v[122:123], v[116:117]
	v_mul_f64 v[116:117], v[124:125], v[116:117]
	v_fma_f64 v[122:123], v[122:123], v[118:119], -v[116:117]
	v_accvgpr_read_b32 v119, a67
	v_accvgpr_read_b32 v118, a66
	v_accvgpr_read_b32 v117, a65
	v_accvgpr_read_b32 v116, a64
	v_mul_f64 v[124:125], v[118:119], v[114:115]
	v_fmac_f64_e32 v[124:125], v[116:117], v[112:113]
	v_mul_f64 v[112:113], v[118:119], v[112:113]
	v_fma_f64 v[112:113], v[116:117], v[114:115], -v[112:113]
	v_accvgpr_read_b32 v117, a63
	v_accvgpr_read_b32 v116, a62
	v_accvgpr_read_b32 v115, a61
	v_accvgpr_read_b32 v114, a60
	;; [unrolled: 8-line block ×10, first 2 shown]
	s_waitcnt lgkmcnt(13)
	v_mul_f64 v[178:179], v[86:87], v[78:79]
	v_fmac_f64_e32 v[178:179], v[84:85], v[76:77]
	v_mul_f64 v[76:77], v[86:87], v[76:77]
	v_fma_f64 v[180:181], v[84:85], v[78:79], -v[76:77]
	v_accvgpr_read_b32 v79, a59
	v_accvgpr_read_b32 v78, a58
	v_accvgpr_read_b32 v77, a57
	v_accvgpr_read_b32 v76, a56
	s_waitcnt lgkmcnt(12)
	v_mul_f64 v[182:183], v[78:79], v[74:75]
	v_fmac_f64_e32 v[182:183], v[76:77], v[72:73]
	v_mul_f64 v[72:73], v[78:79], v[72:73]
	v_fma_f64 v[74:75], v[76:77], v[74:75], -v[72:73]
	v_accvgpr_read_b32 v79, a23
	v_accvgpr_read_b32 v78, a22
	v_accvgpr_read_b32 v77, a21
	v_accvgpr_read_b32 v76, a20
	;; [unrolled: 9-line block ×3, first 2 shown]
	s_waitcnt lgkmcnt(9)
	v_mul_f64 v[68:69], v[72:73], v[66:67]
	v_accvgpr_read_b32 v79, a15
	v_fmac_f64_e32 v[68:69], v[70:71], v[64:65]
	v_mul_f64 v[64:65], v[72:73], v[64:65]
	v_accvgpr_read_b32 v78, a14
	v_fma_f64 v[66:67], v[70:71], v[66:67], -v[64:65]
	v_accvgpr_read_b32 v77, a13
	v_accvgpr_read_b32 v76, a12
	s_waitcnt lgkmcnt(7)
	v_mul_f64 v[70:71], v[78:79], v[62:63]
	v_fmac_f64_e32 v[70:71], v[76:77], v[60:61]
	v_mul_f64 v[60:61], v[78:79], v[60:61]
	v_fma_f64 v[60:61], v[76:77], v[62:63], -v[60:61]
	v_accvgpr_read_b32 v79, a11
	v_accvgpr_read_b32 v78, a10
	v_accvgpr_read_b32 v77, a9
	v_accvgpr_read_b32 v76, a8
	s_waitcnt lgkmcnt(6)
	v_mul_f64 v[62:63], v[78:79], v[58:59]
	v_fmac_f64_e32 v[62:63], v[76:77], v[56:57]
	v_mul_f64 v[56:57], v[78:79], v[56:57]
	v_fma_f64 v[58:59], v[76:77], v[58:59], -v[56:57]
	s_waitcnt lgkmcnt(4)
	v_mul_f64 v[56:57], v[254:255], v[54:55]
	v_fmac_f64_e32 v[56:57], v[252:253], v[52:53]
	v_mul_f64 v[52:53], v[254:255], v[52:53]
	v_fma_f64 v[252:253], v[252:253], v[54:55], -v[52:53]
	v_accvgpr_read_b32 v52, a76
	v_accvgpr_read_b32 v54, a78
	v_accvgpr_read_b32 v55, a79
	v_accvgpr_read_b32 v53, a77
	s_waitcnt lgkmcnt(3)
	v_mul_f64 v[254:255], v[54:55], v[50:51]
	v_fmac_f64_e32 v[254:255], v[52:53], v[48:49]
	v_mul_f64 v[48:49], v[54:55], v[48:49]
	v_fma_f64 v[50:51], v[52:53], v[50:51], -v[48:49]
	;; [unrolled: 14-line block ×3, first 2 shown]
	v_add_f64 v[40:41], v[36:37], v[120:121]
	v_add_f64 v[116:117], v[40:41], v[124:125]
	v_add_f64 v[40:41], v[120:121], v[124:125]
	v_fmac_f64_e32 v[36:37], -0.5, v[40:41]
	v_add_f64 v[40:41], v[122:123], -v[112:113]
	v_fma_f64 v[108:109], s[4:5], v[40:41], v[36:37]
	v_fmac_f64_e32 v[36:37], s[2:3], v[40:41]
	v_add_f64 v[40:41], v[38:39], v[122:123]
	v_add_f64 v[118:119], v[40:41], v[112:113]
	v_add_f64 v[40:41], v[122:123], v[112:113]
	v_fmac_f64_e32 v[38:39], -0.5, v[40:41]
	v_add_f64 v[40:41], v[120:121], -v[124:125]
	v_fma_f64 v[110:111], s[2:3], v[40:41], v[38:39]
	v_fmac_f64_e32 v[38:39], s[4:5], v[40:41]
	;; [unrolled: 7-line block ×20, first 2 shown]
	s_barrier
	ds_write_b128 v185, v[116:119]
	ds_write_b128 v185, v[108:111] offset:4800
	ds_write_b128 v185, v[36:39] offset:9600
	ds_write_b128 v185, v[112:115] offset:1440
	ds_write_b128 v185, v[104:107] offset:6240
	ds_write_b128 v185, v[32:35] offset:11040
	ds_write_b128 v185, v[100:103] offset:2880
	ds_write_b128 v185, v[96:99] offset:7680
	ds_write_b128 v185, v[28:31] offset:12480
	ds_write_b128 v229, v[92:95]
	ds_write_b128 v229, v[88:91] offset:4800
	ds_write_b128 v229, v[24:27] offset:9600
	ds_write_b128 v185, v[84:87] offset:15360
	ds_write_b128 v185, v[80:83] offset:20160
	ds_write_b128 v185, v[20:23] offset:24960
	ds_write_b128 v185, v[76:79] offset:16800
	ds_write_b128 v185, v[72:75] offset:21600
	ds_write_b128 v185, v[16:19] offset:26400
	;; [unrolled: 9-line block ×3, first 2 shown]
	ds_write_b128 v230, v[44:47] offset:28800
	ds_write_b128 v230, v[40:43] offset:33600
	;; [unrolled: 1-line block ×3, first 2 shown]
	s_waitcnt lgkmcnt(0)
	s_barrier
	ds_read_b128 v[16:19], v185
	ds_read_b128 v[84:87], v185 offset:14400
	ds_read_b128 v[76:79], v185 offset:28800
	;; [unrolled: 1-line block ×29, first 2 shown]
	s_waitcnt lgkmcnt(14)
	v_mul_f64 v[120:121], v[250:251], v[86:87]
	v_accvgpr_read_b32 v125, a3
	v_fmac_f64_e32 v[120:121], v[248:249], v[84:85]
	v_mul_f64 v[84:85], v[250:251], v[84:85]
	v_accvgpr_read_b32 v124, a2
	v_fma_f64 v[84:85], v[248:249], v[86:87], -v[84:85]
	v_accvgpr_read_b32 v123, a1
	v_accvgpr_read_b32 v122, a0
	v_mul_f64 v[86:87], v[124:125], v[78:79]
	v_fmac_f64_e32 v[86:87], v[122:123], v[76:77]
	v_mul_f64 v[76:77], v[124:125], v[76:77]
	v_fma_f64 v[76:77], v[122:123], v[78:79], -v[76:77]
	v_mul_f64 v[78:79], v[238:239], v[98:99]
	v_fmac_f64_e32 v[78:79], v[236:237], v[96:97]
	v_mul_f64 v[96:97], v[238:239], v[96:97]
	v_fma_f64 v[122:123], v[236:237], v[98:99], -v[96:97]
	v_mul_f64 v[96:97], v[226:227], v[116:117]
	v_fma_f64 v[126:127], v[224:225], v[118:119], -v[96:97]
	;; [unrolled: 2-line block ×4, first 2 shown]
	v_mul_f64 v[136:137], v[222:223], v[106:107]
	v_mul_f64 v[96:97], v[222:223], v[104:105]
	v_fmac_f64_e32 v[136:137], v[220:221], v[104:105]
	v_fma_f64 v[138:139], v[220:221], v[106:107], -v[96:97]
	v_mul_f64 v[96:97], v[210:211], v[100:101]
	s_waitcnt lgkmcnt(0)
	v_mul_f64 v[104:105], v[154:155], v[42:43]
	v_mul_f64 v[132:133], v[218:219], v[110:111]
	v_fma_f64 v[142:143], v[208:209], v[102:103], -v[96:97]
	v_mul_f64 v[96:97], v[158:159], v[54:55]
	v_fmac_f64_e32 v[104:105], v[152:153], v[40:41]
	v_mul_f64 v[40:41], v[154:155], v[40:41]
	v_fmac_f64_e32 v[132:133], v[216:217], v[108:109]
	v_fmac_f64_e32 v[96:97], v[156:157], v[52:53]
	v_mul_f64 v[52:53], v[158:159], v[52:53]
	v_fma_f64 v[108:109], v[152:153], v[42:43], -v[40:41]
	v_add_f64 v[40:41], v[16:17], v[120:121]
	v_fma_f64 v[106:107], v[156:157], v[54:55], -v[52:53]
	v_add_f64 v[52:53], v[40:41], v[86:87]
	v_add_f64 v[40:41], v[120:121], v[86:87]
	v_fmac_f64_e32 v[16:17], -0.5, v[40:41]
	v_add_f64 v[42:43], v[84:85], -v[76:77]
	v_mul_f64 v[124:125], v[242:243], v[90:91]
	v_mul_f64 v[140:141], v[210:211], v[102:103]
	;; [unrolled: 1-line block ×3, first 2 shown]
	v_fma_f64 v[40:41], s[4:5], v[42:43], v[16:17]
	v_fmac_f64_e32 v[16:17], s[2:3], v[42:43]
	v_add_f64 v[42:43], v[18:19], v[84:85]
	v_fmac_f64_e32 v[124:125], v[240:241], v[88:89]
	v_mul_f64 v[88:89], v[242:243], v[88:89]
	v_fmac_f64_e32 v[140:141], v[208:209], v[100:101]
	v_mul_f64 v[144:145], v[214:215], v[94:95]
	v_mul_f64 v[100:101], v[162:163], v[50:51]
	v_fmac_f64_e32 v[98:99], v[148:149], v[44:45]
	v_mul_f64 v[44:45], v[150:151], v[44:45]
	v_add_f64 v[54:55], v[42:43], v[76:77]
	v_add_f64 v[42:43], v[84:85], v[76:77]
	v_fma_f64 v[88:89], v[240:241], v[90:91], -v[88:89]
	v_mul_f64 v[90:91], v[226:227], v[118:119]
	v_mul_f64 v[128:129], v[234:235], v[114:115]
	v_fmac_f64_e32 v[144:145], v[212:213], v[92:93]
	v_mul_f64 v[92:93], v[214:215], v[92:93]
	v_mul_f64 v[114:115], v[170:171], v[58:59]
	v_fmac_f64_e32 v[100:101], v[160:161], v[48:49]
	v_mul_f64 v[48:49], v[162:163], v[48:49]
	v_fma_f64 v[102:103], v[148:149], v[46:47], -v[44:45]
	v_fmac_f64_e32 v[18:19], -0.5, v[42:43]
	v_add_f64 v[44:45], v[120:121], -v[86:87]
	v_add_f64 v[46:47], v[78:79], v[124:125]
	v_fmac_f64_e32 v[90:91], v[224:225], v[116:117]
	v_fmac_f64_e32 v[128:129], v[232:233], v[112:113]
	v_fma_f64 v[92:93], v[212:213], v[94:95], -v[92:93]
	v_mul_f64 v[94:95], v[174:175], v[70:71]
	v_mul_f64 v[112:113], v[166:167], v[62:63]
	v_fmac_f64_e32 v[114:115], v[168:169], v[56:57]
	v_mul_f64 v[56:57], v[170:171], v[56:57]
	v_fma_f64 v[110:111], v[160:161], v[50:51], -v[48:49]
	v_fma_f64 v[42:43], s[2:3], v[44:45], v[18:19]
	v_fmac_f64_e32 v[18:19], s[4:5], v[44:45]
	v_add_f64 v[44:45], v[28:29], v[78:79]
	v_fmac_f64_e32 v[28:29], -0.5, v[46:47]
	v_add_f64 v[46:47], v[122:123], -v[88:89]
	v_add_f64 v[50:51], v[122:123], v[88:89]
	v_fmac_f64_e32 v[94:95], v[172:173], v[68:69]
	v_mul_f64 v[68:69], v[174:175], v[68:69]
	v_mul_f64 v[174:175], v[192:193], v[66:67]
	v_fmac_f64_e32 v[112:113], v[164:165], v[60:61]
	v_mul_f64 v[60:61], v[166:167], v[60:61]
	v_fma_f64 v[118:119], v[168:169], v[58:59], -v[56:57]
	v_fma_f64 v[48:49], s[4:5], v[46:47], v[28:29]
	v_fmac_f64_e32 v[28:29], s[2:3], v[46:47]
	v_add_f64 v[46:47], v[30:31], v[122:123]
	v_fmac_f64_e32 v[30:31], -0.5, v[50:51]
	v_add_f64 v[56:57], v[78:79], -v[124:125]
	v_add_f64 v[58:59], v[90:91], v[128:129]
	v_fmac_f64_e32 v[174:175], v[190:191], v[64:65]
	v_mul_f64 v[64:65], v[192:193], v[64:65]
	v_fma_f64 v[116:117], v[164:165], v[62:63], -v[60:61]
	v_fma_f64 v[50:51], s[2:3], v[56:57], v[30:31]
	v_fmac_f64_e32 v[30:31], s[4:5], v[56:57]
	v_add_f64 v[56:57], v[36:37], v[90:91]
	v_fmac_f64_e32 v[36:37], -0.5, v[58:59]
	v_add_f64 v[58:59], v[126:127], -v[130:131]
	v_add_f64 v[62:63], v[126:127], v[130:131]
	v_mul_f64 v[178:179], v[206:207], v[74:75]
	v_fma_f64 v[182:183], v[190:191], v[66:67], -v[64:65]
	v_fma_f64 v[60:61], s[4:5], v[58:59], v[36:37]
	v_fmac_f64_e32 v[36:37], s[2:3], v[58:59]
	v_add_f64 v[58:59], v[38:39], v[126:127]
	v_fmac_f64_e32 v[38:39], -0.5, v[62:63]
	v_add_f64 v[64:65], v[90:91], -v[128:129]
	v_add_f64 v[66:67], v[132:133], v[136:137]
	v_fmac_f64_e32 v[178:179], v[204:205], v[72:73]
	v_mul_f64 v[72:73], v[206:207], v[72:73]
	v_fma_f64 v[172:173], v[172:173], v[70:71], -v[68:69]
	v_fma_f64 v[62:63], s[2:3], v[64:65], v[38:39]
	v_fmac_f64_e32 v[38:39], s[4:5], v[64:65]
	v_add_f64 v[64:65], v[32:33], v[132:133]
	v_fmac_f64_e32 v[32:33], -0.5, v[66:67]
	v_add_f64 v[66:67], v[134:135], -v[138:139]
	v_add_f64 v[70:71], v[134:135], v[138:139]
	v_mul_f64 v[146:147], v[196:197], v[82:83]
	v_fma_f64 v[180:181], v[204:205], v[74:75], -v[72:73]
	v_fma_f64 v[68:69], s[4:5], v[66:67], v[32:33]
	v_fmac_f64_e32 v[32:33], s[2:3], v[66:67]
	v_add_f64 v[66:67], v[34:35], v[134:135]
	v_fmac_f64_e32 v[34:35], -0.5, v[70:71]
	v_add_f64 v[72:73], v[132:133], -v[136:137]
	v_add_f64 v[74:75], v[140:141], v[144:145]
	v_fmac_f64_e32 v[146:147], v[194:195], v[80:81]
	v_mul_f64 v[80:81], v[196:197], v[80:81]
	v_fma_f64 v[70:71], s[2:3], v[72:73], v[34:35]
	v_fmac_f64_e32 v[34:35], s[4:5], v[72:73]
	v_add_f64 v[72:73], v[24:25], v[140:141]
	v_fmac_f64_e32 v[24:25], -0.5, v[74:75]
	v_add_f64 v[74:75], v[142:143], -v[92:93]
	v_add_f64 v[78:79], v[142:143], v[92:93]
	v_fma_f64 v[176:177], v[194:195], v[82:83], -v[80:81]
	v_fma_f64 v[76:77], s[4:5], v[74:75], v[24:25]
	v_fmac_f64_e32 v[24:25], s[2:3], v[74:75]
	v_add_f64 v[74:75], v[26:27], v[142:143]
	v_fmac_f64_e32 v[26:27], -0.5, v[78:79]
	v_add_f64 v[80:81], v[140:141], -v[144:145]
	v_add_f64 v[82:83], v[146:147], v[178:179]
	v_fma_f64 v[78:79], s[2:3], v[80:81], v[26:27]
	v_fmac_f64_e32 v[26:27], s[4:5], v[80:81]
	v_add_f64 v[80:81], v[20:21], v[146:147]
	v_fmac_f64_e32 v[20:21], -0.5, v[82:83]
	v_add_f64 v[82:83], v[176:177], -v[180:181]
	v_add_f64 v[86:87], v[176:177], v[180:181]
	v_add_f64 v[46:47], v[46:47], v[88:89]
	v_fma_f64 v[84:85], s[4:5], v[82:83], v[20:21]
	v_fmac_f64_e32 v[20:21], s[2:3], v[82:83]
	v_add_f64 v[82:83], v[22:23], v[176:177]
	v_fmac_f64_e32 v[22:23], -0.5, v[86:87]
	v_add_f64 v[88:89], v[146:147], -v[178:179]
	v_add_f64 v[90:91], v[94:95], v[174:175]
	v_fma_f64 v[86:87], s[2:3], v[88:89], v[22:23]
	v_fmac_f64_e32 v[22:23], s[4:5], v[88:89]
	v_add_f64 v[88:89], v[12:13], v[94:95]
	v_fmac_f64_e32 v[12:13], -0.5, v[90:91]
	v_add_f64 v[90:91], v[172:173], -v[182:183]
	v_add_f64 v[120:121], v[172:173], v[182:183]
	v_add_f64 v[74:75], v[74:75], v[92:93]
	v_fma_f64 v[92:93], s[4:5], v[90:91], v[12:13]
	v_fmac_f64_e32 v[12:13], s[2:3], v[90:91]
	v_add_f64 v[90:91], v[14:15], v[172:173]
	v_fmac_f64_e32 v[14:15], -0.5, v[120:121]
	v_add_f64 v[120:121], v[94:95], -v[174:175]
	v_add_f64 v[122:123], v[112:113], v[114:115]
	v_fma_f64 v[94:95], s[2:3], v[120:121], v[14:15]
	v_fmac_f64_e32 v[14:15], s[4:5], v[120:121]
	v_add_f64 v[120:121], v[8:9], v[112:113]
	v_fmac_f64_e32 v[8:9], -0.5, v[122:123]
	v_add_f64 v[122:123], v[116:117], -v[118:119]
	v_add_f64 v[44:45], v[44:45], v[124:125]
	v_fma_f64 v[124:125], s[4:5], v[122:123], v[8:9]
	v_fmac_f64_e32 v[8:9], s[2:3], v[122:123]
	v_add_f64 v[122:123], v[10:11], v[116:117]
	v_add_f64 v[116:117], v[116:117], v[118:119]
	;; [unrolled: 1-line block ×3, first 2 shown]
	v_fmac_f64_e32 v[10:11], -0.5, v[116:117]
	v_add_f64 v[112:113], v[112:113], -v[114:115]
	v_add_f64 v[114:115], v[96:97], v[100:101]
	v_fma_f64 v[126:127], s[2:3], v[112:113], v[10:11]
	v_fmac_f64_e32 v[10:11], s[4:5], v[112:113]
	v_add_f64 v[112:113], v[4:5], v[96:97]
	v_fmac_f64_e32 v[4:5], -0.5, v[114:115]
	v_add_f64 v[114:115], v[106:107], -v[110:111]
	v_fma_f64 v[116:117], s[4:5], v[114:115], v[4:5]
	v_fmac_f64_e32 v[4:5], s[2:3], v[114:115]
	v_add_f64 v[114:115], v[6:7], v[106:107]
	v_add_f64 v[106:107], v[106:107], v[110:111]
	v_fmac_f64_e32 v[6:7], -0.5, v[106:107]
	v_add_f64 v[96:97], v[96:97], -v[100:101]
	v_add_f64 v[122:123], v[122:123], v[118:119]
	v_fma_f64 v[118:119], s[2:3], v[96:97], v[6:7]
	v_fmac_f64_e32 v[6:7], s[4:5], v[96:97]
	v_add_f64 v[96:97], v[0:1], v[98:99]
	v_add_f64 v[56:57], v[56:57], v[128:129]
	;; [unrolled: 1-line block ×5, first 2 shown]
	v_fmac_f64_e32 v[0:1], -0.5, v[96:97]
	v_add_f64 v[100:101], v[102:103], -v[108:109]
	v_fma_f64 v[96:97], s[4:5], v[100:101], v[0:1]
	v_fmac_f64_e32 v[0:1], s[2:3], v[100:101]
	v_add_f64 v[100:101], v[2:3], v[102:103]
	v_add_f64 v[58:59], v[58:59], v[130:131]
	;; [unrolled: 1-line block ×4, first 2 shown]
	v_fmac_f64_e32 v[2:3], -0.5, v[100:101]
	v_add_f64 v[100:101], v[98:99], -v[104:105]
	v_fma_f64 v[98:99], s[2:3], v[100:101], v[2:3]
	v_fmac_f64_e32 v[2:3], s[4:5], v[100:101]
	v_add_f64 v[64:65], v[64:65], v[136:137]
	v_add_f64 v[66:67], v[66:67], v[138:139]
	;; [unrolled: 1-line block ×8, first 2 shown]
	ds_write_b128 v185, v[52:55]
	ds_write_b128 v185, v[40:43] offset:14400
	ds_write_b128 v185, v[16:19] offset:28800
	;; [unrolled: 1-line block ×29, first 2 shown]
	s_waitcnt lgkmcnt(0)
	s_barrier
	ds_read_b128 v[0:3], v185
	buffer_load_dword v6, off, s[36:39], 0 offset:32 ; 4-byte Folded Reload
	buffer_load_dword v7, off, s[36:39], 0 offset:36 ; 4-byte Folded Reload
	;; [unrolled: 1-line block ×4, first 2 shown]
	s_mov_b32 s2, 0xa0ce5129
	s_mov_b32 s3, 0x3f3845c8
	s_waitcnt vmcnt(0) lgkmcnt(0)
	v_mul_f64 v[4:5], v[8:9], v[2:3]
	v_fmac_f64_e32 v[4:5], v[6:7], v[0:1]
	v_mul_f64 v[0:1], v[8:9], v[0:1]
	v_fma_f64 v[0:1], v[6:7], v[2:3], -v[0:1]
	v_accvgpr_read_b32 v3, a90
	v_mul_f64 v[6:7], v[0:1], s[2:3]
	v_mad_u64_u32 v[0:1], s[4:5], s0, v3, 0
	v_mov_b32_e32 v2, v1
	v_mad_u64_u32 v[2:3], s[4:5], s1, v3, v[2:3]
	v_mov_b32_e32 v1, v2
	buffer_load_dword v2, off, s[36:39], 0 offset:552 ; 4-byte Folded Reload
	buffer_load_dword v3, off, s[36:39], 0 offset:556 ; 4-byte Folded Reload
	v_mov_b32_e32 v8, s13
	v_lshlrev_b64 v[0:1], 4, v[0:1]
	v_mul_f64 v[4:5], v[4:5], s[2:3]
	s_waitcnt vmcnt(0)
	v_lshlrev_b64 v[2:3], 4, v[2:3]
	v_add_co_u32_e32 v2, vcc, s12, v2
	v_addc_co_u32_e32 v3, vcc, v8, v3, vcc
	v_add_co_u32_e32 v8, vcc, v2, v0
	v_addc_co_u32_e32 v9, vcc, v3, v1, vcc
	global_store_dwordx4 v[8:9], v[4:7], off
	ds_read_b128 v[0:3], v185 offset:14400
	buffer_load_dword v10, off, s[36:39], 0 offset:48 ; 4-byte Folded Reload
	buffer_load_dword v11, off, s[36:39], 0 offset:52 ; 4-byte Folded Reload
	buffer_load_dword v12, off, s[36:39], 0 offset:56 ; 4-byte Folded Reload
	buffer_load_dword v13, off, s[36:39], 0 offset:60 ; 4-byte Folded Reload
	v_mad_u64_u32 v[8:9], s[4:5], s0, v231, v[8:9]
	s_mul_i32 s4, s1, 0x3840
	v_add_u32_e32 v9, s4, v9
	s_mulk_i32 s1, 0x9520
	s_sub_i32 s1, s1, s0
	s_waitcnt vmcnt(0) lgkmcnt(0)
	v_mul_f64 v[4:5], v[12:13], v[2:3]
	v_fmac_f64_e32 v[4:5], v[10:11], v[0:1]
	v_mul_f64 v[0:1], v[12:13], v[0:1]
	v_fma_f64 v[0:1], v[10:11], v[2:3], -v[0:1]
	v_mul_f64 v[4:5], v[4:5], s[2:3]
	v_mul_f64 v[6:7], v[0:1], s[2:3]
	global_store_dwordx4 v[8:9], v[4:7], off
	ds_read_b128 v[0:3], v185 offset:28800
	buffer_load_dword v10, off, s[36:39], 0 offset:64 ; 4-byte Folded Reload
	buffer_load_dword v11, off, s[36:39], 0 offset:68 ; 4-byte Folded Reload
	;; [unrolled: 1-line block ×4, first 2 shown]
	v_mad_u64_u32 v[8:9], s[6:7], s0, v231, v[8:9]
	v_add_u32_e32 v9, s4, v9
	s_waitcnt vmcnt(0) lgkmcnt(0)
	v_mul_f64 v[4:5], v[12:13], v[2:3]
	v_fmac_f64_e32 v[4:5], v[10:11], v[0:1]
	v_mul_f64 v[0:1], v[12:13], v[0:1]
	v_fma_f64 v[0:1], v[10:11], v[2:3], -v[0:1]
	v_mul_f64 v[4:5], v[4:5], s[2:3]
	v_mul_f64 v[6:7], v[0:1], s[2:3]
	global_store_dwordx4 v[8:9], v[4:7], off
	ds_read_b128 v[0:3], v185 offset:1440
	buffer_load_dword v10, off, s[36:39], 0 offset:80 ; 4-byte Folded Reload
	buffer_load_dword v11, off, s[36:39], 0 offset:84 ; 4-byte Folded Reload
	;; [unrolled: 1-line block ×4, first 2 shown]
	s_waitcnt vmcnt(0) lgkmcnt(0)
	v_mul_f64 v[4:5], v[12:13], v[2:3]
	v_fmac_f64_e32 v[4:5], v[10:11], v[0:1]
	v_mul_f64 v[0:1], v[12:13], v[0:1]
	v_fma_f64 v[0:1], v[10:11], v[2:3], -v[0:1]
	v_mov_b32_e32 v10, 0xffff9520
	v_mad_u64_u32 v[8:9], s[6:7], s0, v10, v[8:9]
	v_mul_f64 v[4:5], v[4:5], s[2:3]
	v_mul_f64 v[6:7], v[0:1], s[2:3]
	v_add_u32_e32 v9, s1, v9
	global_store_dwordx4 v[8:9], v[4:7], off
	ds_read_b128 v[0:3], v185 offset:15840
	buffer_load_dword v12, off, s[36:39], 0 offset:96 ; 4-byte Folded Reload
	buffer_load_dword v13, off, s[36:39], 0 offset:100 ; 4-byte Folded Reload
	;; [unrolled: 1-line block ×4, first 2 shown]
	v_mad_u64_u32 v[8:9], s[6:7], s0, v231, v[8:9]
	v_add_u32_e32 v9, s4, v9
	s_waitcnt vmcnt(0) lgkmcnt(0)
	v_mul_f64 v[4:5], v[14:15], v[2:3]
	v_fmac_f64_e32 v[4:5], v[12:13], v[0:1]
	v_mul_f64 v[0:1], v[14:15], v[0:1]
	v_fma_f64 v[0:1], v[12:13], v[2:3], -v[0:1]
	v_mul_f64 v[4:5], v[4:5], s[2:3]
	v_mul_f64 v[6:7], v[0:1], s[2:3]
	global_store_dwordx4 v[8:9], v[4:7], off
	ds_read_b128 v[0:3], v185 offset:30240
	buffer_load_dword v12, off, s[36:39], 0 offset:112 ; 4-byte Folded Reload
	buffer_load_dword v13, off, s[36:39], 0 offset:116 ; 4-byte Folded Reload
	;; [unrolled: 1-line block ×4, first 2 shown]
	v_mad_u64_u32 v[8:9], s[6:7], s0, v231, v[8:9]
	v_add_u32_e32 v9, s4, v9
	s_waitcnt vmcnt(0) lgkmcnt(0)
	v_mul_f64 v[4:5], v[14:15], v[2:3]
	v_fmac_f64_e32 v[4:5], v[12:13], v[0:1]
	v_mul_f64 v[0:1], v[14:15], v[0:1]
	v_fma_f64 v[0:1], v[12:13], v[2:3], -v[0:1]
	v_mul_f64 v[4:5], v[4:5], s[2:3]
	v_mul_f64 v[6:7], v[0:1], s[2:3]
	global_store_dwordx4 v[8:9], v[4:7], off
	ds_read_b128 v[0:3], v185 offset:2880
	buffer_load_dword v12, off, s[36:39], 0 offset:128 ; 4-byte Folded Reload
	buffer_load_dword v13, off, s[36:39], 0 offset:132 ; 4-byte Folded Reload
	;; [unrolled: 1-line block ×4, first 2 shown]
	v_mad_u64_u32 v[8:9], s[6:7], s0, v10, v[8:9]
	v_add_u32_e32 v9, s1, v9
	v_mov_b32_e32 v10, 0xffff9520
	s_waitcnt vmcnt(0) lgkmcnt(0)
	v_mul_f64 v[4:5], v[14:15], v[2:3]
	v_fmac_f64_e32 v[4:5], v[12:13], v[0:1]
	v_mul_f64 v[0:1], v[14:15], v[0:1]
	v_fma_f64 v[0:1], v[12:13], v[2:3], -v[0:1]
	v_mul_f64 v[4:5], v[4:5], s[2:3]
	v_mul_f64 v[6:7], v[0:1], s[2:3]
	global_store_dwordx4 v[8:9], v[4:7], off
	ds_read_b128 v[0:3], v185 offset:17280
	buffer_load_dword v12, off, s[36:39], 0 offset:160 ; 4-byte Folded Reload
	buffer_load_dword v13, off, s[36:39], 0 offset:164 ; 4-byte Folded Reload
	buffer_load_dword v14, off, s[36:39], 0 offset:168 ; 4-byte Folded Reload
	buffer_load_dword v15, off, s[36:39], 0 offset:172 ; 4-byte Folded Reload
	v_mad_u64_u32 v[8:9], s[6:7], s0, v231, v[8:9]
	v_add_u32_e32 v9, s4, v9
	s_waitcnt vmcnt(0) lgkmcnt(0)
	v_mul_f64 v[4:5], v[14:15], v[2:3]
	v_fmac_f64_e32 v[4:5], v[12:13], v[0:1]
	v_mul_f64 v[0:1], v[14:15], v[0:1]
	v_fma_f64 v[0:1], v[12:13], v[2:3], -v[0:1]
	v_mul_f64 v[4:5], v[4:5], s[2:3]
	v_mul_f64 v[6:7], v[0:1], s[2:3]
	global_store_dwordx4 v[8:9], v[4:7], off
	ds_read_b128 v[0:3], v185 offset:31680
	buffer_load_dword v12, off, s[36:39], 0 offset:176 ; 4-byte Folded Reload
	buffer_load_dword v13, off, s[36:39], 0 offset:180 ; 4-byte Folded Reload
	buffer_load_dword v14, off, s[36:39], 0 offset:184 ; 4-byte Folded Reload
	buffer_load_dword v15, off, s[36:39], 0 offset:188 ; 4-byte Folded Reload
	v_mad_u64_u32 v[8:9], s[6:7], s0, v231, v[8:9]
	v_add_u32_e32 v9, s4, v9
	;; [unrolled: 15-line block ×20, first 2 shown]
	v_mad_u64_u32 v[10:11], s[6:7], s0, v10, v[8:9]
	v_add_u32_e32 v11, s1, v11
	s_waitcnt vmcnt(0) lgkmcnt(0)
	v_mul_f64 v[4:5], v[14:15], v[2:3]
	v_fmac_f64_e32 v[4:5], v[12:13], v[0:1]
	v_mul_f64 v[0:1], v[14:15], v[0:1]
	v_fma_f64 v[0:1], v[12:13], v[2:3], -v[0:1]
	v_mul_f64 v[4:5], v[4:5], s[2:3]
	v_mul_f64 v[6:7], v[0:1], s[2:3]
	global_store_dwordx4 v[8:9], v[4:7], off
	ds_read_b128 v[0:3], v185 offset:12960
	buffer_load_dword v12, off, s[36:39], 0 offset:480 ; 4-byte Folded Reload
	buffer_load_dword v13, off, s[36:39], 0 offset:484 ; 4-byte Folded Reload
	buffer_load_dword v14, off, s[36:39], 0 offset:488 ; 4-byte Folded Reload
	buffer_load_dword v15, off, s[36:39], 0 offset:492 ; 4-byte Folded Reload
	s_waitcnt vmcnt(0) lgkmcnt(0)
	v_mul_f64 v[4:5], v[14:15], v[2:3]
	v_fmac_f64_e32 v[4:5], v[12:13], v[0:1]
	v_mul_f64 v[0:1], v[14:15], v[0:1]
	v_fma_f64 v[0:1], v[12:13], v[2:3], -v[0:1]
	v_mul_f64 v[4:5], v[4:5], s[2:3]
	v_mul_f64 v[6:7], v[0:1], s[2:3]
	global_store_dwordx4 v[10:11], v[4:7], off
	ds_read_b128 v[0:3], v185 offset:27360
	buffer_load_dword v12, off, s[36:39], 0 offset:496 ; 4-byte Folded Reload
	buffer_load_dword v13, off, s[36:39], 0 offset:500 ; 4-byte Folded Reload
	;; [unrolled: 1-line block ×4, first 2 shown]
	s_waitcnt vmcnt(0) lgkmcnt(0)
	v_mul_f64 v[4:5], v[14:15], v[2:3]
	v_fmac_f64_e32 v[4:5], v[12:13], v[0:1]
	v_mul_f64 v[0:1], v[14:15], v[0:1]
	v_mul_f64 v[6:7], v[4:5], s[2:3]
	v_fma_f64 v[0:1], v[12:13], v[2:3], -v[0:1]
	v_mad_u64_u32 v[4:5], s[6:7], s0, v231, v[10:11]
	v_mul_f64 v[8:9], v[0:1], s[2:3]
	v_add_u32_e32 v5, s4, v5
	global_store_dwordx4 v[4:5], v[6:9], off
	ds_read_b128 v[0:3], v185 offset:41760
	buffer_load_dword v8, off, s[36:39], 0 offset:144 ; 4-byte Folded Reload
	buffer_load_dword v9, off, s[36:39], 0 offset:148 ; 4-byte Folded Reload
	;; [unrolled: 1-line block ×4, first 2 shown]
	s_waitcnt vmcnt(0) lgkmcnt(0)
	v_mul_f64 v[6:7], v[10:11], v[2:3]
	v_fmac_f64_e32 v[6:7], v[8:9], v[0:1]
	v_mul_f64 v[0:1], v[10:11], v[0:1]
	v_fma_f64 v[0:1], v[8:9], v[2:3], -v[0:1]
	v_mul_f64 v[8:9], v[0:1], s[2:3]
	v_mad_u64_u32 v[0:1], s[0:1], s0, v231, v[4:5]
	v_mul_f64 v[6:7], v[6:7], s[2:3]
	v_add_u32_e32 v1, s4, v1
	global_store_dwordx4 v[0:1], v[6:9], off
.LBB0_2:
	s_endpgm
	.section	.rodata,"a",@progbits
	.p2align	6, 0x0
	.amdhsa_kernel bluestein_single_fwd_len2700_dim1_dp_op_CI_CI
		.amdhsa_group_segment_fixed_size 43200
		.amdhsa_private_segment_fixed_size 676
		.amdhsa_kernarg_size 104
		.amdhsa_user_sgpr_count 6
		.amdhsa_user_sgpr_private_segment_buffer 1
		.amdhsa_user_sgpr_dispatch_ptr 0
		.amdhsa_user_sgpr_queue_ptr 0
		.amdhsa_user_sgpr_kernarg_segment_ptr 1
		.amdhsa_user_sgpr_dispatch_id 0
		.amdhsa_user_sgpr_flat_scratch_init 0
		.amdhsa_user_sgpr_kernarg_preload_length 0
		.amdhsa_user_sgpr_kernarg_preload_offset 0
		.amdhsa_user_sgpr_private_segment_size 0
		.amdhsa_uses_dynamic_stack 0
		.amdhsa_system_sgpr_private_segment_wavefront_offset 1
		.amdhsa_system_sgpr_workgroup_id_x 1
		.amdhsa_system_sgpr_workgroup_id_y 0
		.amdhsa_system_sgpr_workgroup_id_z 0
		.amdhsa_system_sgpr_workgroup_info 0
		.amdhsa_system_vgpr_workitem_id 0
		.amdhsa_next_free_vgpr 512
		.amdhsa_next_free_sgpr 40
		.amdhsa_accum_offset 256
		.amdhsa_reserve_vcc 1
		.amdhsa_reserve_flat_scratch 0
		.amdhsa_float_round_mode_32 0
		.amdhsa_float_round_mode_16_64 0
		.amdhsa_float_denorm_mode_32 3
		.amdhsa_float_denorm_mode_16_64 3
		.amdhsa_dx10_clamp 1
		.amdhsa_ieee_mode 1
		.amdhsa_fp16_overflow 0
		.amdhsa_tg_split 0
		.amdhsa_exception_fp_ieee_invalid_op 0
		.amdhsa_exception_fp_denorm_src 0
		.amdhsa_exception_fp_ieee_div_zero 0
		.amdhsa_exception_fp_ieee_overflow 0
		.amdhsa_exception_fp_ieee_underflow 0
		.amdhsa_exception_fp_ieee_inexact 0
		.amdhsa_exception_int_div_zero 0
	.end_amdhsa_kernel
	.text
.Lfunc_end0:
	.size	bluestein_single_fwd_len2700_dim1_dp_op_CI_CI, .Lfunc_end0-bluestein_single_fwd_len2700_dim1_dp_op_CI_CI
                                        ; -- End function
	.section	.AMDGPU.csdata,"",@progbits
; Kernel info:
; codeLenInByte = 44308
; NumSgprs: 44
; NumVgprs: 256
; NumAgprs: 256
; TotalNumVgprs: 512
; ScratchSize: 676
; MemoryBound: 0
; FloatMode: 240
; IeeeMode: 1
; LDSByteSize: 43200 bytes/workgroup (compile time only)
; SGPRBlocks: 5
; VGPRBlocks: 63
; NumSGPRsForWavesPerEU: 44
; NumVGPRsForWavesPerEU: 512
; AccumOffset: 256
; Occupancy: 1
; WaveLimiterHint : 1
; COMPUTE_PGM_RSRC2:SCRATCH_EN: 1
; COMPUTE_PGM_RSRC2:USER_SGPR: 6
; COMPUTE_PGM_RSRC2:TRAP_HANDLER: 0
; COMPUTE_PGM_RSRC2:TGID_X_EN: 1
; COMPUTE_PGM_RSRC2:TGID_Y_EN: 0
; COMPUTE_PGM_RSRC2:TGID_Z_EN: 0
; COMPUTE_PGM_RSRC2:TIDIG_COMP_CNT: 0
; COMPUTE_PGM_RSRC3_GFX90A:ACCUM_OFFSET: 63
; COMPUTE_PGM_RSRC3_GFX90A:TG_SPLIT: 0
	.text
	.p2alignl 6, 3212836864
	.fill 256, 4, 3212836864
	.type	__hip_cuid_368bd07e1b565028,@object ; @__hip_cuid_368bd07e1b565028
	.section	.bss,"aw",@nobits
	.globl	__hip_cuid_368bd07e1b565028
__hip_cuid_368bd07e1b565028:
	.byte	0                               ; 0x0
	.size	__hip_cuid_368bd07e1b565028, 1

	.ident	"AMD clang version 19.0.0git (https://github.com/RadeonOpenCompute/llvm-project roc-6.4.0 25133 c7fe45cf4b819c5991fe208aaa96edf142730f1d)"
	.section	".note.GNU-stack","",@progbits
	.addrsig
	.addrsig_sym __hip_cuid_368bd07e1b565028
	.amdgpu_metadata
---
amdhsa.kernels:
  - .agpr_count:     256
    .args:
      - .actual_access:  read_only
        .address_space:  global
        .offset:         0
        .size:           8
        .value_kind:     global_buffer
      - .actual_access:  read_only
        .address_space:  global
        .offset:         8
        .size:           8
        .value_kind:     global_buffer
      - .actual_access:  read_only
        .address_space:  global
        .offset:         16
        .size:           8
        .value_kind:     global_buffer
      - .actual_access:  read_only
        .address_space:  global
        .offset:         24
        .size:           8
        .value_kind:     global_buffer
      - .actual_access:  read_only
        .address_space:  global
        .offset:         32
        .size:           8
        .value_kind:     global_buffer
      - .offset:         40
        .size:           8
        .value_kind:     by_value
      - .address_space:  global
        .offset:         48
        .size:           8
        .value_kind:     global_buffer
      - .address_space:  global
        .offset:         56
        .size:           8
        .value_kind:     global_buffer
      - .address_space:  global
        .offset:         64
        .size:           8
        .value_kind:     global_buffer
      - .address_space:  global
        .offset:         72
        .size:           8
        .value_kind:     global_buffer
      - .offset:         80
        .size:           4
        .value_kind:     by_value
      - .address_space:  global
        .offset:         88
        .size:           8
        .value_kind:     global_buffer
      - .address_space:  global
        .offset:         96
        .size:           8
        .value_kind:     global_buffer
    .group_segment_fixed_size: 43200
    .kernarg_segment_align: 8
    .kernarg_segment_size: 104
    .language:       OpenCL C
    .language_version:
      - 2
      - 0
    .max_flat_workgroup_size: 90
    .name:           bluestein_single_fwd_len2700_dim1_dp_op_CI_CI
    .private_segment_fixed_size: 676
    .sgpr_count:     44
    .sgpr_spill_count: 0
    .symbol:         bluestein_single_fwd_len2700_dim1_dp_op_CI_CI.kd
    .uniform_work_group_size: 1
    .uses_dynamic_stack: false
    .vgpr_count:     512
    .vgpr_spill_count: 168
    .wavefront_size: 64
amdhsa.target:   amdgcn-amd-amdhsa--gfx90a
amdhsa.version:
  - 1
  - 2
...

	.end_amdgpu_metadata
